;; amdgpu-corpus repo=ROCm/rocFFT kind=compiled arch=gfx1100 opt=O3
	.text
	.amdgcn_target "amdgcn-amd-amdhsa--gfx1100"
	.amdhsa_code_object_version 6
	.protected	fft_rtc_back_len108_factors_6_2_9_wgs_252_tpt_9_dim2_sp_ip_CI_sbcc_twdbase8_3step_dirReg ; -- Begin function fft_rtc_back_len108_factors_6_2_9_wgs_252_tpt_9_dim2_sp_ip_CI_sbcc_twdbase8_3step_dirReg
	.globl	fft_rtc_back_len108_factors_6_2_9_wgs_252_tpt_9_dim2_sp_ip_CI_sbcc_twdbase8_3step_dirReg
	.p2align	8
	.type	fft_rtc_back_len108_factors_6_2_9_wgs_252_tpt_9_dim2_sp_ip_CI_sbcc_twdbase8_3step_dirReg,@function
fft_rtc_back_len108_factors_6_2_9_wgs_252_tpt_9_dim2_sp_ip_CI_sbcc_twdbase8_3step_dirReg: ; @fft_rtc_back_len108_factors_6_2_9_wgs_252_tpt_9_dim2_sp_ip_CI_sbcc_twdbase8_3step_dirReg
; %bb.0:
	s_load_b128 s[4:7], s[0:1], 0x10
	s_mov_b32 s2, s15
	s_mov_b32 s20, -1
	s_mov_b64 s[18:19], 0
	s_waitcnt lgkmcnt(0)
	s_load_b64 s[10:11], s[4:5], 0x8
	s_waitcnt lgkmcnt(0)
	s_add_u32 s3, s10, -1
	s_addc_u32 s4, s11, -1
	s_add_u32 s5, 0, 0x24920400
	s_addc_u32 s8, 0, 25
	s_mul_hi_u32 s12, s5, 0xffffffe4
	s_add_i32 s8, s8, 0x9249230
	s_sub_i32 s12, s12, s5
	s_mul_i32 s14, s8, 0xffffffe4
	s_mul_i32 s9, s5, 0xffffffe4
	s_add_i32 s12, s12, s14
	s_mul_hi_u32 s13, s5, s9
	s_mul_i32 s16, s5, s12
	s_mul_hi_u32 s14, s5, s12
	s_mul_hi_u32 s15, s8, s9
	s_mul_i32 s9, s8, s9
	s_add_u32 s13, s13, s16
	s_addc_u32 s14, 0, s14
	s_mul_hi_u32 s17, s8, s12
	s_add_u32 s9, s13, s9
	s_mul_i32 s12, s8, s12
	s_addc_u32 s9, s14, s15
	s_addc_u32 s13, s17, 0
	s_add_u32 s9, s9, s12
	s_delay_alu instid0(SALU_CYCLE_1) | instskip(SKIP_3) | instid1(VALU_DEP_1)
	v_add_co_u32 v1, s5, s5, s9
	s_addc_u32 s9, 0, s13
	s_cmp_lg_u32 s5, 0
	s_addc_u32 s5, s8, s9
	v_readfirstlane_b32 s8, v1
	s_mul_i32 s12, s3, s5
	s_mul_hi_u32 s9, s3, s5
	s_mul_hi_u32 s13, s4, s5
	s_mul_i32 s5, s4, s5
	s_mul_hi_u32 s14, s3, s8
	s_mul_hi_u32 s15, s4, s8
	s_mul_i32 s8, s4, s8
	s_add_u32 s12, s14, s12
	s_addc_u32 s9, 0, s9
	s_add_u32 s8, s12, s8
	s_addc_u32 s8, s9, s15
	s_addc_u32 s9, s13, 0
	s_add_u32 s5, s8, s5
	s_addc_u32 s14, 0, s9
	s_mul_i32 s9, s5, 28
	s_add_u32 s8, s5, 1
	v_sub_co_u32 v1, s3, s3, s9
	s_mul_hi_u32 s9, s5, 28
	s_addc_u32 s12, s14, 0
	s_mul_i32 s13, s14, 28
	s_delay_alu instid0(VALU_DEP_1)
	v_sub_co_u32 v2, s15, v1, 28
	s_add_u32 s16, s5, 2
	s_addc_u32 s17, s14, 0
	s_add_i32 s9, s9, s13
	s_cmp_lg_u32 s3, 0
	v_readfirstlane_b32 s3, v2
	s_subb_u32 s4, s4, s9
	s_cmp_lg_u32 s15, 0
	s_subb_u32 s9, s4, 0
	s_delay_alu instid0(VALU_DEP_1) | instskip(SKIP_4) | instid1(SALU_CYCLE_1)
	s_cmp_gt_u32 s3, 27
	s_cselect_b32 s3, -1, 0
	s_cmp_eq_u32 s9, 0
	v_readfirstlane_b32 s9, v1
	s_cselect_b32 s3, s3, -1
	s_cmp_lg_u32 s3, 0
	s_cselect_b32 s15, s16, s8
	s_cselect_b32 s16, s17, s12
	s_cmp_gt_u32 s9, 27
	s_load_b64 s[12:13], s[0:1], 0x50
	s_load_b64 s[8:9], s[6:7], 0x0
	s_cselect_b32 s3, -1, 0
	s_cmp_eq_u32 s4, 0
	s_cselect_b32 s3, s3, -1
	s_delay_alu instid0(SALU_CYCLE_1)
	s_cmp_lg_u32 s3, 0
	s_mov_b32 s3, 0
	s_cselect_b32 s4, s15, s5
	s_cselect_b32 s5, s16, s14
	s_add_u32 s16, s4, 1
	s_addc_u32 s17, s5, 0
	s_delay_alu instid0(SALU_CYCLE_1) | instskip(NEXT) | instid1(VALU_DEP_1)
	v_cmp_lt_u64_e64 s3, s[2:3], s[16:17]
	s_and_b32 vcc_lo, exec_lo, s3
	s_cbranch_vccnz .LBB0_2
; %bb.1:
	v_cvt_f32_u32_e32 v1, s16
	s_sub_i32 s4, 0, s16
	s_delay_alu instid0(VALU_DEP_1) | instskip(SKIP_2) | instid1(VALU_DEP_1)
	v_rcp_iflag_f32_e32 v1, v1
	s_waitcnt_depctr 0xfff
	v_mul_f32_e32 v1, 0x4f7ffffe, v1
	v_cvt_u32_f32_e32 v1, v1
	s_delay_alu instid0(VALU_DEP_1) | instskip(NEXT) | instid1(VALU_DEP_1)
	v_readfirstlane_b32 s3, v1
	s_mul_i32 s4, s4, s3
	s_delay_alu instid0(SALU_CYCLE_1) | instskip(NEXT) | instid1(SALU_CYCLE_1)
	s_mul_hi_u32 s4, s3, s4
	s_add_i32 s3, s3, s4
	s_delay_alu instid0(SALU_CYCLE_1) | instskip(NEXT) | instid1(SALU_CYCLE_1)
	s_mul_hi_u32 s3, s2, s3
	s_mul_i32 s4, s3, s16
	s_add_i32 s5, s3, 1
	s_sub_i32 s4, s2, s4
	s_delay_alu instid0(SALU_CYCLE_1)
	s_sub_i32 s14, s4, s16
	s_cmp_ge_u32 s4, s16
	s_cselect_b32 s3, s5, s3
	s_cselect_b32 s4, s14, s4
	s_add_i32 s5, s3, 1
	s_cmp_ge_u32 s4, s16
	s_cselect_b32 s18, s5, s3
.LBB0_2:
	s_load_b128 s[4:7], s[6:7], 0x8
	v_mul_u32_u24_e32 v1, 0x925, v0
	s_mul_i32 s3, s18, s17
	s_mul_hi_u32 s17, s18, s16
	s_mul_i32 s16, s18, s16
	s_add_i32 s17, s17, s3
	v_lshrrev_b32_e32 v118, 16, v1
	s_sub_u32 s2, s2, s16
	s_subb_u32 s3, 0, s17
	s_load_b64 s[14:15], s[0:1], 0x0
	s_mul_hi_u32 s16, s2, 28
	v_mul_lo_u16 v1, v118, 28
	s_mul_i32 s3, s3, 28
	s_mul_i32 s17, s2, 28
	s_add_i32 s16, s16, s3
	v_add_nc_u32_e32 v27, 18, v118
	v_sub_nc_u16 v1, v0, v1
	v_add_nc_u32_e32 v28, 36, v118
	v_add_nc_u32_e32 v29, 9, v118
	;; [unrolled: 1-line block ×3, first 2 shown]
	s_waitcnt lgkmcnt(0)
	s_mul_i32 s3, s17, s5
	s_mul_hi_u32 s19, s17, s4
	s_mul_i32 s2, s16, s4
	s_mul_i32 s7, s7, s18
	s_mul_hi_u32 s22, s6, s18
	s_add_i32 s3, s19, s3
	s_mul_i32 s21, s17, s4
	s_mul_i32 s6, s6, s18
	s_add_i32 s3, s3, s2
	s_add_i32 s22, s22, s7
	s_add_u32 s6, s6, s21
	s_addc_u32 s7, s22, s3
	v_and_b32_e32 v122, 0xffff, v1
	s_add_u32 s2, s17, 28
	s_addc_u32 s3, s16, 0
	v_add_nc_u32_e32 v31, 45, v118
	v_cmp_gt_u64_e64 s18, s[2:3], s[10:11]
	v_add_co_u32 v32, s17, s17, v122
	v_cmp_le_u64_e64 s3, s[2:3], s[10:11]
	v_add_co_ci_u32_e64 v33, null, s16, 0, s17
	v_add_nc_u32_e32 v119, 0x51, v118
	s_and_b32 vcc_lo, exec_lo, s18
	s_cbranch_vccnz .LBB0_4
; %bb.3:
	v_mad_u64_u32 v[1:2], null, s4, v122, 0
	v_mad_u64_u32 v[3:4], null, s8, v118, 0
	s_lshl_b64 s[16:17], s[6:7], 3
	v_add_nc_u32_e32 v18, 0x5a, v118
	s_add_u32 s2, s12, s16
	s_addc_u32 s16, s13, s17
	v_add_nc_u32_e32 v120, 9, v118
	v_add_nc_u32_e32 v34, 27, v118
	s_delay_alu instid0(VALU_DEP_4) | instskip(SKIP_3) | instid1(VALU_DEP_4)
	v_mad_u64_u32 v[5:6], null, s5, v122, v[2:3]
	v_add_nc_u32_e32 v25, 18, v118
	v_mad_u64_u32 v[13:14], null, s8, v18, 0
	v_mad_u64_u32 v[23:24], null, s8, v119, 0
	v_mov_b32_e32 v2, v5
	s_delay_alu instid0(VALU_DEP_4) | instskip(SKIP_2) | instid1(VALU_DEP_4)
	v_mad_u64_u32 v[6:7], null, s8, v25, 0
	v_add_nc_u32_e32 v26, 36, v118
	v_mad_u64_u32 v[8:9], null, s9, v118, v[4:5]
	v_lshlrev_b64 v[1:2], 3, v[1:2]
	v_add_nc_u32_e32 v17, 0x48, v118
	v_add_nc_u32_e32 v121, 45, v118
	v_mov_b32_e32 v5, v7
	v_mad_u64_u32 v[9:10], null, s8, v26, 0
	v_mov_b32_e32 v4, v8
	v_add_co_u32 v42, vcc_lo, s2, v1
	v_add_co_ci_u32_e32 v43, vcc_lo, s16, v2, vcc_lo
	s_delay_alu instid0(VALU_DEP_3)
	v_lshlrev_b64 v[3:4], 3, v[3:4]
	v_mov_b32_e32 v8, v10
	v_mad_u64_u32 v[10:11], null, s9, v25, v[5:6]
	v_add_nc_u32_e32 v12, 54, v118
	v_add_nc_u32_e32 v37, 63, v118
	v_add_co_u32 v3, vcc_lo, v42, v3
	v_add_co_ci_u32_e32 v4, vcc_lo, v43, v4, vcc_lo
	v_mov_b32_e32 v7, v10
	v_mad_u64_u32 v[1:2], null, s8, v12, 0
	v_mad_u64_u32 v[10:11], null, s9, v26, v[8:9]
	s_delay_alu instid0(VALU_DEP_3) | instskip(SKIP_1) | instid1(VALU_DEP_4)
	v_lshlrev_b64 v[5:6], 3, v[6:7]
	v_add_nc_u32_e32 v41, 0x63, v118
	v_mad_u64_u32 v[7:8], null, s9, v12, v[2:3]
	v_mad_u64_u32 v[11:12], null, s8, v17, 0
	s_delay_alu instid0(VALU_DEP_4) | instskip(SKIP_1) | instid1(VALU_DEP_4)
	v_add_co_u32 v5, vcc_lo, v42, v5
	v_add_co_ci_u32_e32 v6, vcc_lo, v43, v6, vcc_lo
	v_mov_b32_e32 v2, v7
	v_lshlrev_b64 v[7:8], 3, v[9:10]
	v_mov_b32_e32 v9, v12
	s_delay_alu instid0(VALU_DEP_3) | instskip(NEXT) | instid1(VALU_DEP_2)
	v_lshlrev_b64 v[1:2], 3, v[1:2]
	v_mad_u64_u32 v[15:16], null, s9, v17, v[9:10]
	v_mov_b32_e32 v9, v14
	v_add_co_u32 v7, vcc_lo, v42, v7
	v_add_co_ci_u32_e32 v8, vcc_lo, v43, v8, vcc_lo
	v_add_co_u32 v16, vcc_lo, v42, v1
	v_mov_b32_e32 v12, v15
	v_mad_u64_u32 v[14:15], null, s9, v18, v[9:10]
	v_mad_u64_u32 v[18:19], null, s8, v120, 0
	v_add_co_ci_u32_e32 v17, vcc_lo, v43, v2, vcc_lo
	s_clause 0x3
	global_load_b64 v[1:2], v[3:4], off
	global_load_b64 v[3:4], v[5:6], off
	;; [unrolled: 1-line block ×4, first 2 shown]
	v_mad_u64_u32 v[15:16], null, s8, v34, 0
	v_lshlrev_b64 v[7:8], 3, v[11:12]
	v_mov_b32_e32 v11, v19
	v_lshlrev_b64 v[13:14], 3, v[13:14]
	s_delay_alu instid0(VALU_DEP_2)
	v_mad_u64_u32 v[19:20], null, s9, v120, v[11:12]
	v_mad_u64_u32 v[20:21], null, s9, v34, v[16:17]
	;; [unrolled: 1-line block ×3, first 2 shown]
	v_add_co_u32 v7, vcc_lo, v42, v7
	v_mad_u64_u32 v[21:22], null, s8, v37, 0
	v_add_co_ci_u32_e32 v8, vcc_lo, v43, v8, vcc_lo
	v_add_co_u32 v13, vcc_lo, v42, v13
	v_lshlrev_b64 v[17:18], 3, v[18:19]
	v_mov_b32_e32 v16, v20
	v_add_co_ci_u32_e32 v14, vcc_lo, v43, v14, vcc_lo
	s_delay_alu instid0(VALU_DEP_4) | instskip(SKIP_4) | instid1(VALU_DEP_4)
	v_mad_u64_u32 v[19:20], null, s9, v121, v[12:13]
	v_mov_b32_e32 v12, v22
	v_mov_b32_e32 v20, v24
	v_lshlrev_b64 v[15:16], 3, v[15:16]
	v_add_co_u32 v17, vcc_lo, v42, v17
	v_mad_u64_u32 v[35:36], null, s9, v37, v[12:13]
	v_mad_u64_u32 v[36:37], null, s8, v41, 0
	v_mov_b32_e32 v12, v19
	v_mad_u64_u32 v[38:39], null, s9, v119, v[20:21]
	v_add_co_ci_u32_e32 v18, vcc_lo, v43, v18, vcc_lo
	s_delay_alu instid0(VALU_DEP_4) | instskip(NEXT) | instid1(VALU_DEP_4)
	v_dual_mov_b32 v22, v35 :: v_dual_mov_b32 v19, v37
	v_lshlrev_b64 v[11:12], 3, v[11:12]
	v_add_co_u32 v15, vcc_lo, v42, v15
	v_mov_b32_e32 v24, v38
	s_delay_alu instid0(VALU_DEP_4)
	v_mad_u64_u32 v[39:40], null, s9, v41, v[19:20]
	v_lshlrev_b64 v[19:20], 3, v[21:22]
	v_add_co_ci_u32_e32 v16, vcc_lo, v43, v16, vcc_lo
	v_add_co_u32 v40, vcc_lo, v42, v11
	v_add_co_ci_u32_e32 v41, vcc_lo, v43, v12, vcc_lo
	v_mov_b32_e32 v37, v39
	v_lshlrev_b64 v[11:12], 3, v[23:24]
	v_add_co_u32 v38, vcc_lo, v42, v19
	v_add_co_ci_u32_e32 v39, vcc_lo, v43, v20, vcc_lo
	s_delay_alu instid0(VALU_DEP_4) | instskip(NEXT) | instid1(VALU_DEP_4)
	v_lshlrev_b64 v[19:20], 3, v[36:37]
	v_add_co_u32 v35, vcc_lo, v42, v11
	v_add_co_ci_u32_e32 v36, vcc_lo, v43, v12, vcc_lo
	s_delay_alu instid0(VALU_DEP_3) | instskip(NEXT) | instid1(VALU_DEP_4)
	v_add_co_u32 v42, vcc_lo, v42, v19
	v_add_co_ci_u32_e32 v43, vcc_lo, v43, v20, vcc_lo
	s_clause 0x7
	global_load_b64 v[23:24], v[7:8], off
	global_load_b64 v[21:22], v[13:14], off
	global_load_b64 v[7:8], v[17:18], off
	global_load_b64 v[11:12], v[15:16], off
	global_load_b64 v[19:20], v[40:41], off
	global_load_b64 v[15:16], v[38:39], off
	global_load_b64 v[17:18], v[35:36], off
	global_load_b64 v[13:14], v[42:43], off
	s_cbranch_execz .LBB0_5
	s_branch .LBB0_10
.LBB0_4:
                                        ; implicit-def: $vgpr1
                                        ; implicit-def: $vgpr21
                                        ; implicit-def: $vgpr7
                                        ; implicit-def: $vgpr11
                                        ; implicit-def: $vgpr19
                                        ; implicit-def: $vgpr13
                                        ; implicit-def: $vgpr17
                                        ; implicit-def: $vgpr15
                                        ; implicit-def: $vgpr23
                                        ; implicit-def: $vgpr5
                                        ; implicit-def: $vgpr9
                                        ; implicit-def: $vgpr3
                                        ; implicit-def: $vgpr120
                                        ; implicit-def: $vgpr25
                                        ; implicit-def: $vgpr34
                                        ; implicit-def: $vgpr26
                                        ; implicit-def: $vgpr121
	s_and_not1_b32 vcc_lo, exec_lo, s20
	s_cbranch_vccnz .LBB0_10
.LBB0_5:
	s_mov_b32 s2, exec_lo
                                        ; implicit-def: $vgpr120
                                        ; implicit-def: $vgpr25
                                        ; implicit-def: $vgpr34
                                        ; implicit-def: $vgpr26
                                        ; implicit-def: $vgpr121
	v_cmpx_le_u64_e64 s[10:11], v[32:33]
	s_xor_b32 s2, exec_lo, s2
; %bb.6:
	v_add_nc_u32_e32 v120, 9, v118
	v_add_nc_u32_e32 v25, 18, v118
	;; [unrolled: 1-line block ×5, first 2 shown]
                                        ; implicit-def: $vgpr27
                                        ; implicit-def: $vgpr28
                                        ; implicit-def: $vgpr29
                                        ; implicit-def: $vgpr30
                                        ; implicit-def: $vgpr31
; %bb.7:
	s_or_saveexec_b32 s2, s2
                                        ; implicit-def: $vgpr1
                                        ; implicit-def: $vgpr21
                                        ; implicit-def: $vgpr7
                                        ; implicit-def: $vgpr11
                                        ; implicit-def: $vgpr19
                                        ; implicit-def: $vgpr13
                                        ; implicit-def: $vgpr17
                                        ; implicit-def: $vgpr15
                                        ; implicit-def: $vgpr23
                                        ; implicit-def: $vgpr5
                                        ; implicit-def: $vgpr9
                                        ; implicit-def: $vgpr3
	s_delay_alu instid0(SALU_CYCLE_1)
	s_xor_b32 exec_lo, exec_lo, s2
	s_cbranch_execz .LBB0_9
; %bb.8:
	s_waitcnt vmcnt(11)
	v_mad_u64_u32 v[1:2], null, s4, v122, 0
	s_waitcnt vmcnt(10)
	v_mad_u64_u32 v[3:4], null, s8, v118, 0
	s_lshl_b64 s[16:17], s[6:7], 3
	v_mov_b32_e32 v120, v29
	s_add_u32 s16, s12, s16
	s_addc_u32 s17, s13, s17
	s_waitcnt vmcnt(1)
	v_add_nc_u32_e32 v17, 0x48, v118
	v_mov_b32_e32 v121, v31
	v_mad_u64_u32 v[5:6], null, s5, v122, v[2:3]
	v_mad_u64_u32 v[6:7], null, s8, v27, 0
	s_waitcnt vmcnt(0)
	v_add_nc_u32_e32 v14, 54, v118
	s_delay_alu instid0(VALU_DEP_3) | instskip(SKIP_1) | instid1(VALU_DEP_4)
	v_mad_u64_u32 v[8:9], null, s9, v118, v[4:5]
	v_mad_u64_u32 v[9:10], null, s8, v28, 0
	v_dual_mov_b32 v2, v5 :: v_dual_mov_b32 v5, v7
	s_delay_alu instid0(VALU_DEP_4) | instskip(NEXT) | instid1(VALU_DEP_4)
	v_mad_u64_u32 v[11:12], null, s8, v14, 0
	v_mov_b32_e32 v4, v8
	s_delay_alu instid0(VALU_DEP_3) | instskip(SKIP_2) | instid1(VALU_DEP_4)
	v_mad_u64_u32 v[7:8], null, s9, v27, v[5:6]
	v_mov_b32_e32 v5, v10
	v_lshlrev_b64 v[1:2], 3, v[1:2]
	v_lshlrev_b64 v[3:4], 3, v[3:4]
	v_mov_b32_e32 v8, v12
	s_delay_alu instid0(VALU_DEP_3) | instskip(NEXT) | instid1(VALU_DEP_4)
	v_add_co_u32 v38, vcc_lo, s16, v1
	v_add_co_ci_u32_e32 v39, vcc_lo, s17, v2, vcc_lo
	v_mad_u64_u32 v[1:2], null, s9, v28, v[5:6]
	s_delay_alu instid0(VALU_DEP_3) | instskip(SKIP_1) | instid1(VALU_DEP_4)
	v_add_co_u32 v2, vcc_lo, v38, v3
	v_mad_u64_u32 v[12:13], null, s9, v14, v[8:9]
	v_add_co_ci_u32_e32 v3, vcc_lo, v39, v4, vcc_lo
	v_lshlrev_b64 v[4:5], 3, v[6:7]
	v_mad_u64_u32 v[7:8], null, s8, v17, 0
	v_mov_b32_e32 v10, v1
	v_lshlrev_b64 v[11:12], 3, v[11:12]
	s_delay_alu instid0(VALU_DEP_4) | instskip(SKIP_3) | instid1(VALU_DEP_2)
	v_add_co_u32 v4, vcc_lo, v38, v4
	v_add_co_ci_u32_e32 v5, vcc_lo, v39, v5, vcc_lo
	v_mov_b32_e32 v1, v8
	v_lshlrev_b64 v[9:10], 3, v[9:10]
	v_mad_u64_u32 v[15:16], null, s9, v17, v[1:2]
	v_mad_u64_u32 v[16:17], null, s8, v29, 0
	v_add_nc_u32_e32 v6, 0x5a, v118
	s_delay_alu instid0(VALU_DEP_4) | instskip(SKIP_1) | instid1(VALU_DEP_3)
	v_add_co_u32 v9, vcc_lo, v38, v9
	v_add_co_ci_u32_e32 v10, vcc_lo, v39, v10, vcc_lo
	v_mad_u64_u32 v[13:14], null, s8, v6, 0
	v_add_co_u32 v11, vcc_lo, v38, v11
	v_add_co_ci_u32_e32 v12, vcc_lo, v39, v12, vcc_lo
	s_delay_alu instid0(VALU_DEP_3) | instskip(NEXT) | instid1(VALU_DEP_1)
	v_mov_b32_e32 v1, v14
	v_mad_u64_u32 v[18:19], null, s9, v6, v[1:2]
	s_clause 0x3
	global_load_b64 v[1:2], v[2:3], off
	global_load_b64 v[3:4], v[4:5], off
	;; [unrolled: 1-line block ×4, first 2 shown]
	v_mov_b32_e32 v11, v17
	s_delay_alu instid0(VALU_DEP_1)
	v_mad_u64_u32 v[20:21], null, s9, v29, v[11:12]
	v_mov_b32_e32 v8, v15
	v_mov_b32_e32 v14, v18
	v_mad_u64_u32 v[18:19], null, s8, v30, 0
	v_mad_u64_u32 v[11:12], null, s8, v31, 0
	v_mov_b32_e32 v17, v20
	v_lshlrev_b64 v[7:8], 3, v[7:8]
	s_delay_alu instid0(VALU_DEP_4) | instskip(SKIP_1) | instid1(VALU_DEP_3)
	v_mov_b32_e32 v15, v19
	v_lshlrev_b64 v[13:14], 3, v[13:14]
	v_add_co_u32 v7, vcc_lo, v38, v7
	s_delay_alu instid0(VALU_DEP_4) | instskip(NEXT) | instid1(VALU_DEP_3)
	v_add_co_ci_u32_e32 v8, vcc_lo, v39, v8, vcc_lo
	v_add_co_u32 v13, vcc_lo, v38, v13
	v_mad_u64_u32 v[19:20], null, s9, v30, v[15:16]
	v_lshlrev_b64 v[15:16], 3, v[16:17]
	s_delay_alu instid0(VALU_DEP_3)
	v_mad_u64_u32 v[22:23], null, s9, v31, v[12:13]
	v_mad_u64_u32 v[23:24], null, s8, v119, 0
	v_add_nc_u32_e32 v34, 63, v118
	v_lshlrev_b64 v[18:19], 3, v[18:19]
	v_add_co_ci_u32_e32 v14, vcc_lo, v39, v14, vcc_lo
	v_add_co_u32 v15, vcc_lo, v38, v15
	v_mov_b32_e32 v17, v24
	v_mad_u64_u32 v[20:21], null, s8, v34, 0
	v_add_co_ci_u32_e32 v16, vcc_lo, v39, v16, vcc_lo
	s_delay_alu instid0(VALU_DEP_2) | instskip(NEXT) | instid1(VALU_DEP_1)
	v_mov_b32_e32 v12, v21
	v_mad_u64_u32 v[25:26], null, s9, v34, v[12:13]
	s_delay_alu instid0(VALU_DEP_1) | instskip(NEXT) | instid1(VALU_DEP_1)
	v_dual_mov_b32 v21, v25 :: v_dual_add_nc_u32 v36, 0x63, v118
	v_mad_u64_u32 v[34:35], null, s8, v36, 0
	v_mad_u64_u32 v[24:25], null, s9, v119, v[17:18]
	v_add_co_u32 v18, vcc_lo, v38, v18
	s_delay_alu instid0(VALU_DEP_4) | instskip(SKIP_2) | instid1(VALU_DEP_1)
	v_lshlrev_b64 v[20:21], 3, v[20:21]
	v_add_co_ci_u32_e32 v19, vcc_lo, v39, v19, vcc_lo
	v_mov_b32_e32 v17, v35
	v_mad_u64_u32 v[25:26], null, s9, v36, v[17:18]
	s_delay_alu instid0(VALU_DEP_1) | instskip(NEXT) | instid1(VALU_DEP_1)
	v_dual_mov_b32 v12, v22 :: v_dual_mov_b32 v35, v25
	v_lshlrev_b64 v[11:12], 3, v[11:12]
	s_delay_alu instid0(VALU_DEP_1) | instskip(NEXT) | instid1(VALU_DEP_2)
	v_add_co_u32 v36, vcc_lo, v38, v11
	v_add_co_ci_u32_e32 v37, vcc_lo, v39, v12, vcc_lo
	v_lshlrev_b64 v[11:12], 3, v[23:24]
	v_add_co_u32 v25, vcc_lo, v38, v20
	v_add_co_ci_u32_e32 v26, vcc_lo, v39, v21, vcc_lo
	v_lshlrev_b64 v[20:21], 3, v[34:35]
	s_delay_alu instid0(VALU_DEP_4) | instskip(SKIP_1) | instid1(VALU_DEP_3)
	v_add_co_u32 v34, vcc_lo, v38, v11
	v_add_co_ci_u32_e32 v35, vcc_lo, v39, v12, vcc_lo
	v_add_co_u32 v38, vcc_lo, v38, v20
	s_delay_alu instid0(VALU_DEP_4)
	v_add_co_ci_u32_e32 v39, vcc_lo, v39, v21, vcc_lo
	s_clause 0x7
	global_load_b64 v[23:24], v[7:8], off
	global_load_b64 v[21:22], v[13:14], off
	;; [unrolled: 1-line block ×8, first 2 shown]
	v_dual_mov_b32 v25, v27 :: v_dual_mov_b32 v34, v30
	v_mov_b32_e32 v26, v28
.LBB0_9:
	s_or_b32 exec_lo, exec_lo, s2
.LBB0_10:
	s_waitcnt vmcnt(7)
	v_dual_add_f32 v27, v9, v23 :: v_dual_add_f32 v30, v10, v24
	v_dual_add_f32 v28, v9, v1 :: v_dual_sub_f32 v29, v10, v24
	v_sub_f32_e32 v9, v9, v23
	s_delay_alu instid0(VALU_DEP_3) | instskip(SKIP_1) | instid1(VALU_DEP_3)
	v_dual_fmac_f32 v1, -0.5, v27 :: v_dual_add_f32 v10, v10, v2
	s_waitcnt vmcnt(6)
	v_dual_add_f32 v23, v23, v28 :: v_dual_add_f32 v28, v6, v22
	s_delay_alu instid0(VALU_DEP_2) | instskip(NEXT) | instid1(VALU_DEP_3)
	v_dual_fmac_f32 v2, -0.5, v30 :: v_dual_fmamk_f32 v27, v29, 0xbf5db3d7, v1
	v_dual_add_f32 v24, v24, v10 :: v_dual_fmac_f32 v1, 0x3f5db3d7, v29
	v_add_f32_e32 v30, v4, v6
	s_delay_alu instid0(VALU_DEP_4)
	v_fmac_f32_e32 v4, -0.5, v28
	v_sub_f32_e32 v28, v5, v21
	v_add_f32_e32 v10, v5, v21
	v_dual_fmamk_f32 v29, v9, 0x3f5db3d7, v2 :: v_dual_sub_f32 v6, v6, v22
	v_add_f32_e32 v5, v3, v5
	v_fmac_f32_e32 v2, 0xbf5db3d7, v9
	v_fmamk_f32 v9, v28, 0x3f5db3d7, v4
	v_dual_fmac_f32 v3, -0.5, v10 :: v_dual_fmac_f32 v4, 0xbf5db3d7, v28
	s_delay_alu instid0(VALU_DEP_4) | instskip(SKIP_2) | instid1(VALU_DEP_3)
	v_add_f32_e32 v28, v5, v21
	v_cmp_gt_u32_e64 s2, 0x54, v0
	s_mov_b32 s16, 0
	v_fmamk_f32 v5, v6, 0xbf5db3d7, v3
	v_fmac_f32_e32 v3, 0x3f5db3d7, v6
	v_dual_mul_f32 v6, 0xbf5db3d7, v9 :: v_dual_mul_f32 v31, 0xbf5db3d7, v4
	s_delay_alu instid0(VALU_DEP_3) | instskip(NEXT) | instid1(VALU_DEP_2)
	v_dual_add_f32 v30, v30, v22 :: v_dual_mul_f32 v35, 0x3f5db3d7, v5
	v_dual_fmac_f32 v31, -0.5, v3 :: v_dual_lshlrev_b32 v48, 3, v122
	s_delay_alu instid0(VALU_DEP_2) | instskip(NEXT) | instid1(VALU_DEP_3)
	v_dual_mul_f32 v36, -0.5, v4 :: v_dual_fmac_f32 v35, 0.5, v9
	v_dual_fmac_f32 v6, 0.5, v5 :: v_dual_add_f32 v5, v30, v24
	s_delay_alu instid0(VALU_DEP_3) | instskip(NEXT) | instid1(VALU_DEP_3)
	v_add_f32_e32 v21, v1, v31
	v_fmac_f32_e32 v36, 0x3f5db3d7, v3
	s_waitcnt vmcnt(1)
	v_add_f32_e32 v3, v17, v19
	v_dual_add_f32 v4, v28, v23 :: v_dual_add_f32 v9, v27, v6
	v_dual_add_f32 v10, v29, v35 :: v_dual_sub_f32 v23, v23, v28
	v_dual_add_f32 v22, v2, v36 :: v_dual_sub_f32 v27, v27, v6
	v_dual_sub_f32 v28, v29, v35 :: v_dual_add_f32 v29, v18, v20
	v_add_f32_e32 v6, v19, v7
	v_dual_sub_f32 v2, v2, v36 :: v_dual_fmac_f32 v7, -0.5, v3
	v_sub_f32_e32 v3, v20, v18
	v_add_f32_e32 v20, v20, v8
	s_delay_alu instid0(VALU_DEP_4) | instskip(NEXT) | instid1(VALU_DEP_3)
	v_dual_add_f32 v6, v17, v6 :: v_dual_sub_f32 v17, v19, v17
	v_dual_fmac_f32 v8, -0.5, v29 :: v_dual_fmamk_f32 v19, v3, 0xbf5db3d7, v7
	s_delay_alu instid0(VALU_DEP_3)
	v_dual_fmac_f32 v7, 0x3f5db3d7, v3 :: v_dual_add_f32 v20, v18, v20
	s_waitcnt vmcnt(0)
	v_dual_add_f32 v3, v16, v14 :: v_dual_add_f32 v18, v15, v13
	v_add_f32_e32 v29, v16, v12
	v_dual_sub_f32 v1, v1, v31 :: v_dual_sub_f32 v24, v24, v30
	v_fmamk_f32 v30, v17, 0x3f5db3d7, v8
	s_delay_alu instid0(VALU_DEP_4) | instskip(SKIP_2) | instid1(VALU_DEP_3)
	v_dual_fmac_f32 v12, -0.5, v3 :: v_dual_sub_f32 v3, v15, v13
	v_dual_add_f32 v15, v15, v11 :: v_dual_sub_f32 v16, v16, v14
	v_dual_fmac_f32 v11, -0.5, v18 :: v_dual_fmac_f32 v8, 0xbf5db3d7, v17
	v_fmamk_f32 v17, v3, 0x3f5db3d7, v12
	v_fmac_f32_e32 v12, 0xbf5db3d7, v3
	s_delay_alu instid0(VALU_DEP_4) | instskip(NEXT) | instid1(VALU_DEP_4)
	v_add_f32_e32 v3, v13, v15
	v_fmamk_f32 v13, v16, 0xbf5db3d7, v11
	s_delay_alu instid0(VALU_DEP_1) | instskip(SKIP_3) | instid1(VALU_DEP_4)
	v_mul_f32_e32 v36, 0x3f5db3d7, v13
	v_mul_f32_e32 v18, 0xbf5db3d7, v17
	v_fmac_f32_e32 v11, 0x3f5db3d7, v16
	v_mul_f32_e32 v31, 0xbf5db3d7, v12
	v_dual_mul_f32 v37, -0.5, v12 :: v_dual_fmac_f32 v36, 0.5, v17
	s_delay_alu instid0(VALU_DEP_4) | instskip(SKIP_3) | instid1(VALU_DEP_4)
	v_fmac_f32_e32 v18, 0.5, v13
	v_dual_add_f32 v35, v14, v29 :: v_dual_add_f32 v12, v3, v6
	v_sub_f32_e32 v6, v6, v3
	v_mul_lo_u16 v3, v118, 43
	v_add_f32_e32 v14, v19, v18
	s_delay_alu instid0(VALU_DEP_4) | instskip(SKIP_4) | instid1(VALU_DEP_4)
	v_add_f32_e32 v13, v35, v20
	v_dual_fmac_f32 v31, -0.5, v11 :: v_dual_sub_f32 v18, v19, v18
	v_fmac_f32_e32 v37, 0x3f5db3d7, v11
	v_mul_u32_u24_e32 v11, 0x540, v118
	v_lshrrev_b16 v3, 8, v3
	v_dual_add_f32 v16, v7, v31 :: v_dual_add_f32 v15, v30, v36
	s_delay_alu instid0(VALU_DEP_4)
	v_add_f32_e32 v17, v8, v37
	v_sub_f32_e32 v29, v7, v31
	v_add3_u32 v11, 0, v11, v48
	v_dual_sub_f32 v19, v30, v36 :: v_dual_sub_f32 v30, v8, v37
	v_mul_lo_u16 v8, v3, 6
	ds_store_2addr_b64 v11, v[4:5], v[9:10] offset1:28
	ds_store_2addr_b64 v11, v[21:22], v[23:24] offset0:56 offset1:84
	ds_store_2addr_b64 v11, v[27:28], v[1:2] offset0:112 offset1:140
	v_sub_f32_e32 v7, v20, v35
	v_mul_i32_i24_e32 v20, 0x540, v120
	v_sub_nc_u16 v4, v118, v8
	v_and_b32_e32 v2, 0xff, v120
	s_delay_alu instid0(VALU_DEP_3) | instskip(NEXT) | instid1(VALU_DEP_3)
	v_add3_u32 v31, 0, v20, v48
	v_and_b32_e32 v1, 0xff, v4
	s_delay_alu instid0(VALU_DEP_3)
	v_mul_lo_u16 v8, 0xab, v2
	v_and_b32_e32 v2, 0xff, v34
	ds_store_2addr_b64 v31, v[12:13], v[14:15] offset1:28
	ds_store_2addr_b64 v31, v[16:17], v[6:7] offset0:56 offset1:84
	ds_store_2addr_b64 v31, v[18:19], v[29:30] offset0:112 offset1:140
	v_lshlrev_b32_e32 v1, 3, v1
	s_waitcnt lgkmcnt(0)
	s_barrier
	buffer_gl0_inv
	v_and_b32_e32 v6, 0xff, v26
	global_load_b64 v[17:18], v1, s[14:15]
	v_and_b32_e32 v5, 0xff, v25
	v_mul_lo_u16 v2, 0xab, v2
	v_lshrrev_b16 v9, 10, v8
	v_mul_lo_u16 v6, 0xab, v6
	v_mad_u16 v3, v3, 12, v4
	v_mul_lo_u16 v5, 0xab, v5
	v_lshrrev_b16 v12, 10, v2
	v_mul_lo_u16 v10, v9, 6
	v_lshrrev_b16 v6, 10, v6
	v_and_b32_e32 v55, 0xff, v3
	v_lshrrev_b16 v5, 10, v5
	v_mul_lo_u16 v13, v12, 6
	v_sub_nc_u16 v10, v120, v10
	v_mul_lo_u16 v14, v6, 6
	s_delay_alu instid0(VALU_DEP_4) | instskip(SKIP_1) | instid1(VALU_DEP_2)
	v_mul_lo_u16 v2, v5, 6
	v_and_b32_e32 v52, 0xffff, v5
	v_sub_nc_u16 v2, v25, v2
	s_delay_alu instid0(VALU_DEP_1) | instskip(SKIP_1) | instid1(VALU_DEP_1)
	v_and_b32_e32 v36, 0xff, v2
	v_sub_nc_u16 v2, v26, v14
	v_and_b32_e32 v49, 0xff, v2
	s_delay_alu instid0(VALU_DEP_3)
	v_lshlrev_b32_e32 v2, 3, v36
	global_load_b64 v[21:22], v2, s[14:15]
	v_and_b32_e32 v7, 0xff, v121
	v_and_b32_e32 v35, 0xff, v10
	v_sub_nc_u16 v10, v34, v13
	v_and_b32_e32 v53, 0xffff, v12
	s_delay_alu instid0(VALU_DEP_4) | instskip(NEXT) | instid1(VALU_DEP_4)
	v_mul_lo_u16 v7, 0xab, v7
	v_lshlrev_b32_e32 v1, 3, v35
	s_delay_alu instid0(VALU_DEP_4) | instskip(NEXT) | instid1(VALU_DEP_3)
	v_and_b32_e32 v37, 0xff, v10
	v_lshrrev_b16 v7, 10, v7
	global_load_b64 v[19:20], v1, s[14:15]
	v_lshlrev_b32_e32 v10, 3, v37
	v_lshlrev_b32_e32 v1, 3, v49
	v_mul_lo_u16 v15, v7, 6
	s_delay_alu instid0(VALU_DEP_1) | instskip(NEXT) | instid1(VALU_DEP_1)
	v_sub_nc_u16 v13, v121, v15
	v_and_b32_e32 v50, 0xff, v13
	v_mul_i32_i24_e32 v13, 0xe0, v121
	s_delay_alu instid0(VALU_DEP_2)
	v_lshlrev_b32_e32 v2, 3, v50
	s_clause 0x2
	global_load_b64 v[23:24], v10, s[14:15]
	global_load_b64 v[27:28], v1, s[14:15]
	;; [unrolled: 1-line block ×3, first 2 shown]
	v_mul_i32_i24_e32 v1, 0xe0, v25
	v_mul_i32_i24_e32 v10, 0xe0, v26
	v_mul_i32_i24_e32 v2, 0xe0, v34
	v_add3_u32 v34, 0, v13, v48
	v_and_b32_e32 v54, 0xffff, v6
	v_add3_u32 v14, 0, v1, v48
	v_mad_i32_i24 v1, 0xfffffba0, v118, v11
	v_add3_u32 v51, 0, v10, v48
	v_add3_u32 v15, 0, v2, v48
	v_mad_i32_i24 v2, 0xfffffba0, v120, v31
	v_and_b32_e32 v31, 0xffff, v9
	v_add_nc_u32_e32 v10, 0x2f40, v1
	v_add_nc_u32_e32 v11, 0x3f00, v1
	;; [unrolled: 1-line block ×3, first 2 shown]
	ds_load_2addr_b64 v[3:6], v10 offset1:252
	ds_load_2addr_b64 v[9:12], v11 offset1:252
	ds_load_b64 v[25:26], v1
	ds_load_b64 v[38:39], v2
	;; [unrolled: 1-line block ×4, first 2 shown]
	ds_load_2addr_b64 v[13:16], v13 offset1:252
	ds_load_b64 v[44:45], v51
	ds_load_b64 v[46:47], v34
	v_mul_u32_u24_e32 v34, 0xe0, v55
	v_mad_u32_u24 v31, v31, 12, v35
	v_mad_u32_u24 v35, v52, 12, v36
	;; [unrolled: 1-line block ×4, first 2 shown]
	v_add3_u32 v49, 0, v34, v48
	v_mul_u32_u24_e32 v31, 0xe0, v31
	v_mul_u32_u24_e32 v34, 0xe0, v35
	v_mul_u32_u24_e32 v35, 0xe0, v36
	v_mul_u32_u24_e32 v36, 0xe0, v37
	s_waitcnt vmcnt(0) lgkmcnt(0)
	v_add3_u32 v31, 0, v31, v48
	s_barrier
	v_add3_u32 v52, 0, v35, v48
	v_add3_u32 v53, 0, v36, v48
	buffer_gl0_inv
	v_mul_f32_e32 v35, v28, v14
	v_dual_mul_f32 v36, v16, v30 :: v_dual_and_b32 v7, 0xffff, v7
	v_mul_f32_e32 v28, v28, v13
	v_mul_f32_e32 v30, v15, v30
	s_delay_alu instid0(VALU_DEP_4) | instskip(NEXT) | instid1(VALU_DEP_4)
	v_fmac_f32_e32 v35, v27, v13
	v_fmac_f32_e32 v36, v15, v29
	v_mad_u32_u24 v7, v7, 12, v50
	v_add3_u32 v50, 0, v34, v48
	v_mul_f32_e32 v34, v18, v4
	v_mul_f32_e32 v18, v18, v3
	v_fma_f32 v15, v16, v29, -v30
	v_mul_u32_u24_e32 v7, 0xe0, v7
	v_sub_f32_e32 v36, v46, v36
	v_fmac_f32_e32 v34, v17, v3
	v_fma_f32 v4, v17, v4, -v18
	v_sub_f32_e32 v37, v47, v15
	v_mul_f32_e32 v17, v20, v6
	v_dual_mul_f32 v3, v20, v5 :: v_dual_mul_f32 v18, v22, v10
	v_mul_f32_e32 v20, v22, v9
	v_mul_f32_e32 v22, v24, v12
	s_delay_alu instid0(VALU_DEP_4) | instskip(NEXT) | instid1(VALU_DEP_4)
	v_dual_mul_f32 v24, v24, v11 :: v_dual_fmac_f32 v17, v19, v5
	v_fma_f32 v19, v19, v6, -v3
	v_fmac_f32_e32 v18, v21, v9
	v_fma_f32 v20, v21, v10, -v20
	v_fmac_f32_e32 v22, v23, v11
	v_fma_f32 v21, v23, v12, -v24
	v_fma_f32 v23, v27, v14, -v28
	v_dual_sub_f32 v3, v25, v34 :: v_dual_sub_f32 v4, v26, v4
	v_dual_sub_f32 v9, v38, v17 :: v_dual_sub_f32 v10, v39, v19
	;; [unrolled: 1-line block ×4, first 2 shown]
	v_sub_f32_e32 v34, v44, v35
	v_sub_f32_e32 v35, v45, v23
	v_fma_f32 v5, v25, 2.0, -v3
	v_fma_f32 v6, v26, 2.0, -v4
	;; [unrolled: 1-line block ×10, first 2 shown]
	v_add3_u32 v7, 0, v7, v48
	v_fma_f32 v38, v46, 2.0, -v36
	v_fma_f32 v39, v47, 2.0, -v37
	ds_store_2addr_b64 v49, v[5:6], v[3:4] offset1:168
	ds_store_2addr_b64 v31, v[15:16], v[9:10] offset1:168
	;; [unrolled: 1-line block ×6, first 2 shown]
	s_waitcnt lgkmcnt(0)
	s_barrier
	buffer_gl0_inv
	ds_load_b64 v[64:65], v51
	ds_load_b64 v[52:53], v1
	ds_load_b64 v[68:69], v1 offset:2688
	ds_load_b64 v[66:67], v1 offset:5376
	;; [unrolled: 1-line block ×7, first 2 shown]
                                        ; implicit-def: $vgpr49
                                        ; implicit-def: $vgpr47
                                        ; implicit-def: $vgpr45
                                        ; implicit-def: $vgpr41
                                        ; implicit-def: $vgpr43
                                        ; implicit-def: $vgpr51
	s_and_saveexec_b32 s17, s2
	s_cbranch_execz .LBB0_12
; %bb.11:
	ds_load_b64 v[34:35], v2
	ds_load_b64 v[38:39], v1 offset:4704
	ds_load_b64 v[36:37], v1 offset:7392
	;; [unrolled: 1-line block ×8, first 2 shown]
.LBB0_12:
	s_or_b32 exec_lo, exec_lo, s17
	v_mul_lo_u16 v0, v118, 22
	s_load_b64 s[0:1], s[0:1], 0x8
	v_lshrrev_b16 v8, 11, v8
	s_movk_i32 s17, 0x1000
	s_and_not1_b32 vcc_lo, exec_lo, s3
	v_lshrrev_b16 v0, 8, v0
	s_delay_alu instid0(VALU_DEP_2) | instskip(NEXT) | instid1(VALU_DEP_2)
	v_mul_lo_u16 v8, v8, 12
	v_mul_lo_u16 v0, v0, 12
	s_delay_alu instid0(VALU_DEP_2) | instskip(NEXT) | instid1(VALU_DEP_2)
	v_sub_nc_u16 v8, v120, v8
	v_sub_nc_u16 v0, v118, v0
	s_delay_alu instid0(VALU_DEP_1) | instskip(NEXT) | instid1(VALU_DEP_1)
	v_and_b32_e32 v123, 0xff, v0
	v_lshlrev_b32_e32 v9, 6, v123
	s_clause 0x1
	global_load_b128 v[4:7], v9, s[14:15] offset:48
	global_load_b128 v[0:3], v9, s[14:15] offset:64
	s_waitcnt vmcnt(1) lgkmcnt(0)
	v_dual_mul_f32 v175, v5, v69 :: v_dual_and_b32 v8, 0xff, v8
	s_waitcnt vmcnt(0)
	v_mul_f32_e32 v181, v3, v63
	v_dual_mul_f32 v5, v5, v68 :: v_dual_mul_f32 v178, v7, v67
	v_add_nc_u32_e32 v124, 12, v123
	v_add_nc_u32_e32 v128, 60, v123
	v_dual_fmac_f32 v175, v4, v68 :: v_dual_add_nc_u32 v126, 0x54, v123
	s_delay_alu instid0(VALU_DEP_4)
	v_fma_f32 v177, v4, v69, -v5
	v_mul_f32_e32 v4, v7, v66
	s_clause 0x1
	global_load_b128 v[16:19], v9, s[14:15] offset:80
	global_load_b128 v[20:23], v9, s[14:15] offset:96
	v_mul_lo_u32 v24, v32, v123
	v_or_b32_e32 v10, 48, v123
	v_dual_fmac_f32 v178, v6, v66 :: v_dual_add_nc_u32 v125, 24, v123
	v_dual_mul_f32 v180, v1, v65 :: v_dual_add_nc_u32 v129, 36, v123
	s_delay_alu instid0(VALU_DEP_3)
	v_mul_lo_u32 v77, v32, v10
	v_mul_f32_e32 v1, v1, v64
	v_lshrrev_b32_e32 v10, 5, v24
	v_and_b32_e32 v9, 0xff, v24
	v_mul_lo_u32 v27, v32, v124
	v_mul_lo_u32 v25, v32, v125
	v_dual_fmac_f32 v180, v0, v64 :: v_dual_add_nc_u32 v127, 0x48, v123
	v_and_b32_e32 v10, 0x7f8, v10
	v_fma_f32 v182, v0, v65, -v1
	v_dual_mul_f32 v0, v3, v62 :: v_dual_lshlrev_b32 v9, 3, v9
	v_and_b32_e32 v11, 0xff, v27
	v_and_b32_e32 v13, 0xff, v25
	v_lshrrev_b32_e32 v12, 5, v27
	s_delay_alu instid0(VALU_DEP_4)
	v_fma_f32 v183, v2, v63, -v0
	v_mul_lo_u32 v26, v32, v129
	v_mul_lo_u32 v74, v32, v128
	;; [unrolled: 1-line block ×4, first 2 shown]
	v_lshrrev_b32_e32 v24, 13, v24
	v_mul_lo_u32 v78, v32, v8
	v_or_b32_e32 v80, 48, v8
	v_or_b32_e32 v84, 0x60, v8
	v_lshrrev_b32_e32 v14, 5, v26
	v_and_or_b32 v24, 0x7f8, v24, s17
	v_lshrrev_b32_e32 v27, 13, v27
	v_lshrrev_b32_e32 v138, 13, v25
	v_mul_lo_u32 v80, v32, v80
	v_lshrrev_b32_e32 v143, 5, v78
	v_fma_f32 v179, v6, v67, -v4
	v_mul_lo_u32 v84, v32, v84
	s_delay_alu instid0(VALU_DEP_4) | instskip(SKIP_2) | instid1(VALU_DEP_4)
	v_dual_fmac_f32 v181, v2, v62 :: v_dual_and_b32 v148, 0xff, v80
	v_lshrrev_b32_e32 v149, 5, v80
	v_lshrrev_b32_e32 v80, 13, v80
	;; [unrolled: 1-line block ×3, first 2 shown]
	s_delay_alu instid0(VALU_DEP_2)
	v_and_or_b32 v170, 0x7f8, v80, s17
	s_waitcnt vmcnt(1)
	v_mul_f32_e32 v0, v17, v60
	s_clause 0x1
	global_load_b64 v[70:71], v9, s[0:1]
	global_load_b64 v[72:73], v10, s[0:1] offset:2048
	v_lshrrev_b32_e32 v9, 5, v25
	v_mul_f32_e32 v184, v17, v61
	v_lshlrev_b32_e32 v10, 3, v11
	v_dual_mul_f32 v2, v19, v58 :: v_dual_lshlrev_b32 v13, 3, v13
	s_waitcnt vmcnt(2)
	v_dual_mul_f32 v186, v21, v57 :: v_dual_and_b32 v11, 0x7f8, v12
	v_dual_mul_f32 v188, v23, v55 :: v_dual_and_b32 v9, 0x7f8, v9
	s_clause 0x1
	global_load_b64 v[90:91], v10, s[0:1]
	global_load_b64 v[92:93], v11, s[0:1] offset:2048
	v_fmac_f32_e32 v184, v16, v60
	s_clause 0x1
	global_load_b64 v[98:99], v13, s[0:1]
	global_load_b64 v[102:103], v9, s[0:1] offset:2048
	v_dual_mul_f32 v185, v19, v59 :: v_dual_and_b32 v12, 0xff, v26
	v_dual_mul_f32 v3, v21, v56 :: v_dual_and_b32 v10, 0xff, v77
	v_lshrrev_b32_e32 v9, 5, v77
	s_delay_alu instid0(VALU_DEP_3)
	v_lshlrev_b32_e32 v11, 3, v12
	v_and_b32_e32 v12, 0x7f8, v14
	v_dual_fmac_f32 v186, v20, v56 :: v_dual_and_b32 v13, 0xff, v74
	v_fma_f32 v187, v16, v61, -v0
	v_mul_f32_e32 v0, v23, v54
	s_clause 0x1
	global_load_b64 v[94:95], v11, s[0:1]
	global_load_b64 v[96:97], v12, s[0:1] offset:2048
	v_lshrrev_b32_e32 v11, 5, v74
	v_lshlrev_b32_e32 v10, 3, v10
	v_dual_fmac_f32 v188, v22, v54 :: v_dual_and_b32 v9, 0x7f8, v9
	v_add_nc_u32_e32 v29, 12, v8
	s_delay_alu instid0(VALU_DEP_4)
	v_and_b32_e32 v11, 0x7f8, v11
	v_dual_fmac_f32 v185, v18, v58 :: v_dual_and_b32 v12, 0xff, v75
	v_add_nc_u32_e32 v31, 36, v8
	v_fma_f32 v189, v18, v59, -v2
	v_add_nc_u32_e32 v81, 60, v8
	v_add_nc_u32_e32 v82, 0x48, v8
	;; [unrolled: 1-line block ×3, first 2 shown]
	v_lshrrev_b32_e32 v77, 13, v77
	v_lshrrev_b32_e32 v74, 13, v74
	v_mul_lo_u32 v81, v32, v81
	v_lshlrev_b32_e32 v168, 3, v148
	v_mul_lo_u32 v82, v32, v82
	v_and_or_b32 v77, 0x7f8, v77, s17
	v_and_or_b32 v5, 0x7f8, v74, s17
	v_mul_lo_u32 v83, v32, v83
	v_and_b32_e32 v157, 0xff, v84
	v_lshrrev_b32_e32 v84, 13, v84
	v_and_b32_e32 v150, 0xff, v81
	v_lshrrev_b32_e32 v151, 5, v81
	v_lshrrev_b32_e32 v81, 13, v81
	;; [unrolled: 1-line block ×3, first 2 shown]
	s_delay_alu instid0(VALU_DEP_4) | instskip(SKIP_1) | instid1(VALU_DEP_4)
	v_lshlrev_b32_e32 v171, 3, v150
	v_lshrrev_b32_e32 v156, 5, v83
	v_and_or_b32 v173, 0x7f8, v81, s17
	s_delay_alu instid0(VALU_DEP_4) | instskip(NEXT) | instid1(VALU_DEP_3)
	v_and_b32_e32 v154, 0x7f8, v154
	v_and_b32_e32 v156, 0x7f8, v156
	s_waitcnt vmcnt(6)
	v_mul_f32_e32 v190, v70, v73
	v_lshlrev_b32_e32 v13, 3, v13
	v_mul_lo_u32 v87, v32, v29
	s_delay_alu instid0(VALU_DEP_3) | instskip(NEXT) | instid1(VALU_DEP_2)
	v_fmac_f32_e32 v190, v71, v72
	v_lshrrev_b32_e32 v144, 5, v87
	s_waitcnt vmcnt(2)
	v_mul_f32_e32 v2, v99, v103
	v_mul_f32_e32 v103, v98, v103
	s_clause 0x1
	global_load_b64 v[106:107], v10, s[0:1]
	global_load_b64 v[108:109], v9, s[0:1] offset:2048
	v_lshrrev_b32_e32 v9, 5, v75
	v_and_b32_e32 v10, 0xff, v76
	s_clause 0x1
	global_load_b64 v[100:101], v13, s[0:1]
	global_load_b64 v[104:105], v11, s[0:1] offset:2048
	v_fmac_f32_e32 v103, v99, v102
	v_lshrrev_b32_e32 v11, 5, v76
	v_lshlrev_b32_e32 v12, 3, v12
	v_and_b32_e32 v9, 0x7f8, v9
	v_lshlrev_b32_e32 v10, 3, v10
	v_mul_lo_u32 v89, v32, v31
	v_and_b32_e32 v11, 0x7f8, v11
	s_clause 0x3
	global_load_b64 v[110:111], v12, s[0:1]
	global_load_b64 v[112:113], v9, s[0:1] offset:2048
	global_load_b64 v[114:115], v10, s[0:1]
	global_load_b64 v[116:117], v11, s[0:1] offset:2048
	v_or_b32_e32 v9, 0x60, v123
	v_add_nc_u32_e32 v30, 24, v8
	v_lshlrev_b32_e32 v28, 6, v8
	v_lshrrev_b32_e32 v76, 13, v76
	v_lshrrev_b32_e32 v147, 5, v89
	v_mul_lo_u32 v79, v32, v9
	v_mul_lo_u32 v88, v32, v30
	v_lshrrev_b32_e32 v75, 13, v75
	v_and_or_b32 v7, 0x7f8, v76, s17
	v_and_b32_e32 v166, 0x7f8, v147
	v_and_b32_e32 v153, 0xff, v82
	v_lshrrev_b32_e32 v82, 13, v82
	v_and_or_b32 v68, 0x7f8, v75, s17
	v_and_b32_e32 v85, 0xff, v79
	v_lshrrev_b32_e32 v86, 5, v79
	v_and_b32_e32 v145, 0xff, v88
	v_lshrrev_b32_e32 v146, 5, v88
	v_lshrrev_b32_e32 v79, 13, v79
	v_lshlrev_b32_e32 v29, 3, v85
	v_and_b32_e32 v30, 0x7f8, v86
	v_and_or_b32 v86, 0x7f8, v27, s17
	v_lshrrev_b32_e32 v85, 13, v26
	v_lshlrev_b32_e32 v162, 3, v145
	v_and_b32_e32 v163, 0x7f8, v146
	v_and_or_b32 v4, 0x7f8, v79, s17
	v_lshrrev_b32_e32 v88, 13, v88
	v_and_or_b32 v85, 0x7f8, v85, s17
	v_and_b32_e32 v155, 0xff, v83
	v_lshrrev_b32_e32 v83, 13, v83
	v_and_or_b32 v174, 0x7f8, v82, s17
	v_and_or_b32 v164, 0x7f8, v88, s17
	s_delay_alu instid0(VALU_DEP_3)
	v_and_or_b32 v176, 0x7f8, v83, s17
	s_waitcnt vmcnt(2)
	v_mul_f32_e32 v99, v110, v113
	s_clause 0x1
	global_load_b128 v[8:11], v28, s[14:15] offset:96
	global_load_b128 v[12:15], v28, s[14:15] offset:80
	s_clause 0x2
	global_load_b64 v[130:131], v29, s[0:1]
	global_load_b64 v[132:133], v30, s[0:1] offset:2048
	global_load_b64 v[134:135], v24, s[0:1]
	s_clause 0x1
	global_load_b128 v[24:27], v28, s[14:15] offset:64
	global_load_b128 v[28:31], v28, s[14:15] offset:48
	global_load_b64 v[136:137], v86, s[0:1]
	v_and_or_b32 v86, 0x7f8, v138, s17
	s_clause 0x1
	global_load_b64 v[138:139], v85, s[0:1]
	global_load_b64 v[140:141], v86, s[0:1]
	v_dual_fmac_f32 v99, v111, v112 :: v_dual_and_b32 v142, 0xff, v78
	v_and_b32_e32 v85, 0x7f8, v143
	v_and_b32_e32 v160, 0x7f8, v144
	v_and_b32_e32 v169, 0x7f8, v149
	s_delay_alu instid0(VALU_DEP_4)
	v_lshlrev_b32_e32 v152, 3, v142
	s_clause 0x2
	global_load_b64 v[142:143], v77, s[0:1]
	global_load_b64 v[144:145], v5, s[0:1]
	;; [unrolled: 1-line block ×3, first 2 shown]
	v_and_b32_e32 v172, 0x7f8, v151
	s_clause 0x1
	global_load_b64 v[148:149], v68, s[0:1]
	global_load_b64 v[150:151], v4, s[0:1]
	v_lshrrev_b32_e32 v78, 13, v78
	v_and_b32_e32 v86, 0xff, v87
	v_lshrrev_b32_e32 v87, 13, v87
	v_and_b32_e32 v77, 0xff, v89
	v_lshrrev_b32_e32 v89, 13, v89
	v_and_or_b32 v78, 0x7f8, v78, s17
	v_lshlrev_b32_e32 v159, 3, v86
	v_and_or_b32 v161, 0x7f8, v87, s17
	v_lshlrev_b32_e32 v165, 3, v77
	v_and_or_b32 v167, 0x7f8, v89, s17
	s_clause 0x3
	global_load_b64 v[88:89], v85, s[0:1] offset:2048
	global_load_b64 v[86:87], v78, s[0:1]
	global_load_b64 v[78:79], v159, s[0:1]
	global_load_b64 v[80:81], v160, s[0:1] offset:2048
	v_fma_f32 v160, v22, v55, -v0
	v_dual_mul_f32 v0, v71, v73 :: v_dual_and_b32 v1, 0x7f8, v158
	v_and_or_b32 v158, 0x7f8, v84, s17
	s_clause 0x3
	global_load_b64 v[76:77], v161, s[0:1]
	global_load_b64 v[82:83], v162, s[0:1]
	global_load_b64 v[84:85], v163, s[0:1] offset:2048
	global_load_b64 v[74:75], v164, s[0:1]
	v_fma_f32 v159, v20, v57, -v3
	v_fma_f32 v161, v70, v72, -v0
	v_mul_f32_e32 v0, v91, v93
	v_mul_f32_e32 v93, v90, v93
	s_delay_alu instid0(VALU_DEP_2) | instskip(NEXT) | instid1(VALU_DEP_2)
	v_fma_f32 v162, v90, v92, -v0
	v_dual_fmac_f32 v93, v91, v92 :: v_dual_mul_f32 v92, v94, v97
	v_mul_f32_e32 v0, v95, v97
	s_waitcnt vmcnt(23)
	v_mul_f32_e32 v90, v115, v117
	v_fma_f32 v97, v98, v102, -v2
	v_mul_f32_e32 v2, v107, v109
	v_dual_fmac_f32 v92, v95, v96 :: v_dual_mul_f32 v95, v100, v105
	v_fma_f32 v94, v94, v96, -v0
	v_dual_mul_f32 v0, v101, v105 :: v_dual_lshlrev_b32 v155, 3, v155
	s_delay_alu instid0(VALU_DEP_4) | instskip(NEXT) | instid1(VALU_DEP_4)
	v_fma_f32 v96, v106, v108, -v2
	v_fmac_f32_e32 v95, v101, v104
	v_mul_f32_e32 v101, v114, v117
	s_delay_alu instid0(VALU_DEP_4)
	v_fma_f32 v100, v100, v104, -v0
	v_fma_f32 v104, v114, v116, -v90
	v_mul_f32_e32 v2, v111, v113
	v_lshlrev_b32_e32 v153, 3, v153
	v_dual_fmac_f32 v101, v115, v116 :: v_dual_mul_f32 v98, v106, v109
	v_add_f32_e32 v106, v178, v186
	s_delay_alu instid0(VALU_DEP_4)
	v_fma_f32 v102, v110, v112, -v2
	v_sub_f32_e32 v112, v178, v186
	v_sub_f32_e32 v116, v180, v185
	v_dual_add_f32 v117, v182, v189 :: v_dual_fmac_f32 v98, v107, v108
	v_add_f32_e32 v110, v177, v160
	v_sub_f32_e32 v107, v175, v188
	v_add_f32_e32 v108, v179, v159
	v_add_f32_e32 v105, v175, v188
	v_sub_f32_e32 v109, v177, v160
	v_add_f32_e32 v111, v180, v185
	v_sub_f32_e32 v113, v179, v159
	s_waitcnt vmcnt(19)
	v_mul_f32_e32 v114, v131, v133
	v_mul_f32_e32 v115, v130, v133
	v_sub_f32_e32 v133, v182, v189
	s_clause 0x3
	global_load_b64 v[70:71], v165, s[0:1]
	global_load_b64 v[72:73], v166, s[0:1] offset:2048
	global_load_b64 v[64:65], v167, s[0:1]
	global_load_b64 v[66:67], v168, s[0:1]
	v_fma_f32 v114, v130, v132, -v114
	s_waitcnt vmcnt(22)
	v_dual_fmac_f32 v115, v131, v132 :: v_dual_mul_f32 v132, v161, v135
	v_dual_mul_f32 v130, v190, v135 :: v_dual_lshlrev_b32 v157, 3, v157
	s_clause 0x3
	global_load_b64 v[68:69], v169, s[0:1] offset:2048
	global_load_b64 v[60:61], v170, s[0:1]
	global_load_b64 v[58:59], v171, s[0:1]
	global_load_b64 v[62:63], v172, s[0:1] offset:2048
	v_dual_sub_f32 v131, v181, v184 :: v_dual_fmac_f32 v132, v134, v190
	s_clause 0x3
	global_load_b64 v[56:57], v173, s[0:1]
	global_load_b64 v[18:19], v153, s[0:1]
	global_load_b64 v[20:21], v154, s[0:1] offset:2048
	global_load_b64 v[6:7], v174, s[0:1]
	v_sub_f32_e32 v135, v183, v187
	v_fma_f32 v130, v134, v161, -v130
	s_waitcnt vmcnt(27)
	v_mul_f32_e32 v134, v162, v137
	s_clause 0x6
	global_load_b64 v[22:23], v155, s[0:1]
	global_load_b64 v[54:55], v156, s[0:1] offset:2048
	global_load_b64 v[16:17], v176, s[0:1]
	global_load_b64 v[2:3], v157, s[0:1]
	global_load_b64 v[4:5], v1, s[0:1] offset:2048
	global_load_b64 v[0:1], v158, s[0:1]
	global_load_b64 v[90:91], v152, s[0:1]
	v_dual_mul_f32 v153, v93, v137 :: v_dual_mul_f32 v154, 0x3f248dbb, v107
	v_dual_add_f32 v137, v183, v187 :: v_dual_fmac_f32 v134, v136, v93
	s_waitcnt vmcnt(32)
	v_mul_f32_e32 v155, v103, v141
	v_mul_f32_e32 v93, v97, v141
	v_add_f32_e32 v152, v181, v184
	v_fma_f32 v153, v136, v162, -v153
	v_dual_mul_f32 v136, 0x3f248dbb, v109 :: v_dual_add_f32 v141, v111, v52
	v_fma_f32 v97, v140, v97, -v155
	v_mul_f32_e32 v155, v92, v139
	v_fmac_f32_e32 v93, v140, v103
	v_dual_add_f32 v140, v108, v110 :: v_dual_mul_f32 v103, v94, v139
	v_add_f32_e32 v139, v106, v105
	v_fmac_f32_e32 v136, 0x3f7c1c5c, v113
	v_fmamk_f32 v158, v137, 0x3f441b7d, v53
	s_delay_alu instid0(VALU_DEP_4)
	v_dual_fmac_f32 v103, v138, v92 :: v_dual_add_f32 v92, v117, v53
	v_fma_f32 v155, v138, v94, -v155
	s_waitcnt vmcnt(31)
	v_mul_f32_e32 v94, v98, v143
	v_mul_f32_e32 v138, v96, v143
	v_fmac_f32_e32 v136, 0x3f5db3d7, v133
	v_fmac_f32_e32 v158, 0x3e31d0d4, v110
	s_delay_alu instid0(VALU_DEP_4) | instskip(SKIP_4) | instid1(VALU_DEP_4)
	v_fma_f32 v156, v142, v96, -v94
	v_add_f32_e32 v94, v152, v139
	v_fmac_f32_e32 v138, v142, v98
	v_dual_add_f32 v96, v137, v140 :: v_dual_mul_f32 v143, 0xbf248dbb, v131
	v_mul_f32_e32 v142, 0x3f7c1c5c, v131
	v_dual_mul_f32 v98, 0xbf248dbb, v135 :: v_dual_fmac_f32 v141, -0.5, v94
	v_mul_f32_e32 v94, 0x3f7c1c5c, v135
	s_delay_alu instid0(VALU_DEP_4) | instskip(SKIP_4) | instid1(VALU_DEP_4)
	v_fmac_f32_e32 v92, -0.5, v96
	v_dual_fmac_f32 v154, 0x3f7c1c5c, v112 :: v_dual_fmac_f32 v143, 0x3f7c1c5c, v107
	v_fma_f32 v142, 0xbf248dbb, v112, -v142
	v_fmac_f32_e32 v98, 0x3f7c1c5c, v109
	v_fma_f32 v157, 0xbf248dbb, v113, -v94
	v_fmac_f32_e32 v154, 0x3f5db3d7, v116
	v_fmac_f32_e32 v143, 0xbf5db3d7, v116
	;; [unrolled: 1-line block ×3, first 2 shown]
	v_add_f32_e32 v116, v111, v139
	v_fmamk_f32 v94, v152, 0x3f441b7d, v52
	v_fmac_f32_e32 v157, 0x3f5db3d7, v133
	v_add_f32_e32 v139, v117, v140
	v_fmamk_f32 v96, v105, 0x3f441b7d, v52
	v_add_f32_e32 v116, v181, v116
	v_fmac_f32_e32 v98, 0xbf5db3d7, v133
	v_fmamk_f32 v133, v106, 0x3f441b7d, v52
	s_delay_alu instid0(VALU_DEP_4) | instskip(SKIP_2) | instid1(VALU_DEP_3)
	v_dual_add_f32 v139, v183, v139 :: v_dual_fmac_f32 v96, 0x3e31d0d4, v106
	v_fmac_f32_e32 v94, 0x3e31d0d4, v105
	v_dual_fmac_f32 v154, 0x3eaf1d44, v131 :: v_dual_fmac_f32 v157, 0x3eaf1d44, v109
	v_dual_fmac_f32 v133, 0x3e31d0d4, v152 :: v_dual_fmac_f32 v96, -0.5, v111
	s_delay_alu instid0(VALU_DEP_3) | instskip(SKIP_1) | instid1(VALU_DEP_3)
	v_dual_fmac_f32 v143, 0x3eaf1d44, v112 :: v_dual_fmac_f32 v94, -0.5, v111
	v_fmamk_f32 v140, v110, 0x3f441b7d, v53
	v_fmac_f32_e32 v133, -0.5, v111
	v_add_f32_e32 v111, v131, v107
	v_add_f32_e32 v131, v135, v109
	;; [unrolled: 1-line block ×3, first 2 shown]
	s_waitcnt vmcnt(27)
	v_dual_mul_f32 v139, v115, v151 :: v_dual_fmac_f32 v96, 0xbf708fb2, v152
	v_fmac_f32_e32 v133, 0xbf708fb2, v105
	v_dual_sub_f32 v131, v131, v113 :: v_dual_fmac_f32 v142, 0x3eaf1d44, v107
	v_dual_add_f32 v107, v184, v116 :: v_dual_fmac_f32 v98, 0x3eaf1d44, v113
	v_dual_mul_f32 v113, v100, v145 :: v_dual_fmac_f32 v140, 0x3e31d0d4, v108
	v_sub_f32_e32 v111, v111, v112
	s_delay_alu instid0(VALU_DEP_4) | instskip(NEXT) | instid1(VALU_DEP_3)
	v_fmac_f32_e32 v141, 0xbf5db3d7, v131
	v_fmac_f32_e32 v113, v144, v95
	v_dual_fmac_f32 v136, 0x3eaf1d44, v135 :: v_dual_mul_f32 v135, v95, v145
	v_fmac_f32_e32 v140, -0.5, v117
	v_dual_mul_f32 v95, v102, v149 :: v_dual_fmac_f32 v94, 0xbf708fb2, v106
	v_mul_f32_e32 v106, v99, v149
	s_delay_alu instid0(VALU_DEP_4)
	v_fma_f32 v135, v144, v100, -v135
	v_mul_f32_e32 v100, v101, v147
	v_fmac_f32_e32 v92, 0x3f5db3d7, v111
	v_fmac_f32_e32 v140, 0xbf708fb2, v137
	v_mul_f32_e32 v152, 0x3f5db3d7, v111
	v_dual_mul_f32 v111, v114, v151 :: v_dual_fmac_f32 v158, -0.5, v117
	v_fmac_f32_e32 v95, v148, v99
	v_fma_f32 v99, v146, v104, -v100
	v_dual_add_f32 v100, v53, v109 :: v_dual_fmac_f32 v53, 0x3f441b7d, v108
	s_delay_alu instid0(VALU_DEP_4) | instskip(SKIP_2) | instid1(VALU_DEP_4)
	v_fmac_f32_e32 v111, v150, v115
	v_mul_f32_e32 v112, 0x3f5db3d7, v131
	v_fma_f32 v131, v148, v102, -v106
	v_fmac_f32_e32 v53, 0x3e31d0d4, v137
	s_delay_alu instid0(VALU_DEP_1) | instskip(SKIP_2) | instid1(VALU_DEP_3)
	v_dual_fmac_f32 v53, -0.5, v117 :: v_dual_mul_f32 v102, v92, v103
	v_mul_f32_e32 v103, v141, v103
	v_dual_sub_f32 v105, v94, v98 :: v_dual_mul_f32 v116, v104, v147
	v_fmac_f32_e32 v53, 0xbf708fb2, v110
	v_add_f32_e32 v115, v154, v140
	v_fma_f32 v112, 2.0, v112, v141
	v_fmac_f32_e32 v158, 0xbf708fb2, v108
	v_fmac_f32_e32 v116, v146, v101
	v_fma_f32 v101, v150, v114, -v139
	v_fma_f32 v114, -2.0, v152, v92
	v_fma_f32 v98, 2.0, v98, v105
	v_mul_f32_e32 v108, v100, v132
	v_mul_f32_e32 v106, v115, v134
	v_fma_f32 v103, v92, v155, -v103
	v_mul_f32_e32 v94, v114, v95
	v_mul_f32_e32 v95, v112, v95
	v_dual_add_f32 v139, v143, v158 :: v_dual_fmac_f32 v102, v141, v155
	s_delay_alu instid0(VALU_DEP_3) | instskip(SKIP_1) | instid1(VALU_DEP_3)
	v_fmac_f32_e32 v94, v112, v131
	v_sub_f32_e32 v112, v133, v157
	v_mul_f32_e32 v104, v139, v93
	v_mul_f32_e32 v93, v105, v93
	v_fma_f32 v137, -2.0, v143, v139
	v_fma_f32 v95, v114, v131, -v95
	v_fma_f32 v110, 2.0, v157, v112
	v_add_f32_e32 v52, v52, v107
	v_fmac_f32_e32 v104, v105, v97
	v_fma_f32 v105, v139, v97, -v93
	v_mul_f32_e32 v114, v112, v138
	s_delay_alu instid0(VALU_DEP_4) | instskip(SKIP_2) | instid1(VALU_DEP_3)
	v_mul_f32_e32 v107, v52, v132
	v_dual_sub_f32 v96, v96, v136 :: v_dual_add_f32 v53, v142, v53
	v_fmac_f32_e32 v108, v52, v130
	v_fma_f32 v109, v100, v130, -v107
	s_delay_alu instid0(VALU_DEP_3) | instskip(SKIP_2) | instid1(VALU_DEP_3)
	v_fma_f32 v136, 2.0, v136, v96
	v_mul_f32_e32 v132, v96, v134
	v_fmac_f32_e32 v106, v96, v153
	v_dual_mul_f32 v100, v53, v138 :: v_dual_mul_f32 v97, v136, v111
	v_mul_f32_e32 v52, v98, v116
	v_mul_f32_e32 v92, v137, v116
	v_fma_f32 v107, v115, v153, -v132
	s_delay_alu instid0(VALU_DEP_4) | instskip(NEXT) | instid1(VALU_DEP_4)
	v_fmac_f32_e32 v100, v112, v156
	v_fma_f32 v93, v137, v99, -v52
	v_fma_f32 v52, -2.0, v154, v115
	v_fmac_f32_e32 v92, v98, v99
	s_delay_alu instid0(VALU_DEP_2) | instskip(SKIP_2) | instid1(VALU_DEP_3)
	v_dual_mul_f32 v99, v110, v113 :: v_dual_mul_f32 v96, v52, v111
	v_fma_f32 v111, -2.0, v142, v53
	v_fma_f32 v97, v52, v101, -v97
	v_fmac_f32_e32 v96, v136, v101
	s_delay_alu instid0(VALU_DEP_3) | instskip(SKIP_2) | instid1(VALU_DEP_3)
	v_mul_f32_e32 v98, v111, v113
	v_fma_f32 v101, v53, v156, -v114
	v_fma_f32 v99, v111, v135, -v99
	v_fmac_f32_e32 v98, v110, v135
	s_cbranch_vccnz .LBB0_14
; %bb.13:
	v_mad_u64_u32 v[52:53], null, s4, v122, 0
	v_mad_u64_u32 v[110:111], null, s8, v123, 0
	s_lshl_b64 s[0:1], s[6:7], 3
	v_mad_u64_u32 v[130:131], null, s8, v129, 0
	s_add_u32 s0, s12, s0
	s_waitcnt vmcnt(5)
	s_delay_alu instid0(VALU_DEP_3) | instskip(SKIP_3) | instid1(VALU_DEP_2)
	v_mad_u64_u32 v[112:113], null, s5, v122, v[53:54]
	v_mad_u64_u32 v[113:114], null, s8, v124, 0
	s_addc_u32 s1, s13, s1
	s_and_b32 s16, s2, exec_lo
	v_mad_u64_u32 v[115:116], null, s9, v123, v[111:112]
	s_delay_alu instid0(VALU_DEP_2) | instskip(SKIP_1) | instid1(VALU_DEP_2)
	v_dual_mov_b32 v53, v112 :: v_dual_mov_b32 v112, v114
	v_mad_u64_u32 v[116:117], null, s8, v125, 0
	v_lshlrev_b64 v[52:53], 3, v[52:53]
	s_delay_alu instid0(VALU_DEP_3) | instskip(SKIP_1) | instid1(VALU_DEP_4)
	v_mad_u64_u32 v[132:133], null, s9, v124, v[112:113]
	v_mov_b32_e32 v111, v115
	v_dual_mov_b32 v112, v131 :: v_dual_mov_b32 v115, v117
	s_delay_alu instid0(VALU_DEP_4)
	v_add_co_u32 v52, vcc_lo, s0, v52
	v_add_co_ci_u32_e32 v53, vcc_lo, s1, v53, vcc_lo
	v_mov_b32_e32 v114, v132
	v_lshlrev_b64 v[110:111], 3, v[110:111]
	v_mad_u64_u32 v[131:132], null, s9, v125, v[115:116]
	v_add_nc_u32_e32 v132, 48, v123
	s_delay_alu instid0(VALU_DEP_3) | instskip(NEXT) | instid1(VALU_DEP_4)
	v_add_co_u32 v110, vcc_lo, v52, v110
	v_add_co_ci_u32_e32 v111, vcc_lo, v53, v111, vcc_lo
	s_delay_alu instid0(VALU_DEP_4) | instskip(SKIP_4) | instid1(VALU_DEP_3)
	v_mov_b32_e32 v117, v131
	global_store_b64 v[110:111], v[108:109], off
	v_lshlrev_b64 v[110:111], 3, v[113:114]
	v_mad_u64_u32 v[113:114], null, s9, v129, v[112:113]
	v_mad_u64_u32 v[114:115], null, s8, v132, 0
	v_add_co_u32 v110, vcc_lo, v52, v110
	s_delay_alu instid0(VALU_DEP_4) | instskip(NEXT) | instid1(VALU_DEP_3)
	v_add_co_ci_u32_e32 v111, vcc_lo, v53, v111, vcc_lo
	v_dual_mov_b32 v131, v113 :: v_dual_mov_b32 v112, v115
	v_lshlrev_b64 v[115:116], 3, v[116:117]
	global_store_b64 v[110:111], v[106:107], off
	v_lshlrev_b64 v[110:111], 3, v[130:131]
	v_mad_u64_u32 v[130:131], null, s9, v132, v[112:113]
	v_add_co_u32 v112, vcc_lo, v52, v115
	v_add_co_ci_u32_e32 v113, vcc_lo, v53, v116, vcc_lo
	v_mad_u64_u32 v[116:117], null, s8, v128, 0
	s_delay_alu instid0(VALU_DEP_4)
	v_mov_b32_e32 v115, v130
	v_add_co_u32 v110, vcc_lo, v52, v110
	v_add_co_ci_u32_e32 v111, vcc_lo, v53, v111, vcc_lo
	global_store_b64 v[112:113], v[104:105], off
	v_lshlrev_b64 v[112:113], 3, v[114:115]
	v_mov_b32_e32 v114, v117
	global_store_b64 v[110:111], v[102:103], off
	v_mad_u64_u32 v[110:111], null, s8, v127, 0
	v_mad_u64_u32 v[130:131], null, s9, v128, v[114:115]
	;; [unrolled: 1-line block ×3, first 2 shown]
	v_add_co_u32 v112, vcc_lo, v52, v112
	v_add_co_ci_u32_e32 v113, vcc_lo, v53, v113, vcc_lo
	v_add_nc_u32_e32 v135, 0x60, v123
	s_delay_alu instid0(VALU_DEP_3)
	v_mad_u64_u32 v[131:132], null, s9, v127, v[111:112]
	global_store_b64 v[112:113], v[100:101], off
	v_mov_b32_e32 v112, v115
	v_mad_u64_u32 v[132:133], null, s8, v135, 0
	v_mov_b32_e32 v117, v130
	v_mov_b32_e32 v111, v131
	s_delay_alu instid0(VALU_DEP_2) | instskip(NEXT) | instid1(VALU_DEP_4)
	v_lshlrev_b64 v[115:116], 3, v[116:117]
	v_mov_b32_e32 v113, v133
	s_delay_alu instid0(VALU_DEP_3) | instskip(NEXT) | instid1(VALU_DEP_2)
	v_lshlrev_b64 v[110:111], 3, v[110:111]
	v_mad_u64_u32 v[130:131], null, s9, v126, v[112:113]
	s_delay_alu instid0(VALU_DEP_4) | instskip(SKIP_2) | instid1(VALU_DEP_4)
	v_add_co_u32 v112, vcc_lo, v52, v115
	v_mad_u64_u32 v[133:134], null, s9, v135, v[113:114]
	v_add_co_ci_u32_e32 v113, vcc_lo, v53, v116, vcc_lo
	v_mov_b32_e32 v115, v130
	v_add_co_u32 v110, vcc_lo, v52, v110
	v_add_co_ci_u32_e32 v111, vcc_lo, v53, v111, vcc_lo
	global_store_b64 v[112:113], v[98:99], off
	v_lshlrev_b64 v[112:113], 3, v[114:115]
	global_store_b64 v[110:111], v[94:95], off
	v_lshlrev_b64 v[110:111], 3, v[132:133]
	v_add_co_u32 v112, vcc_lo, v52, v112
	v_add_co_ci_u32_e32 v113, vcc_lo, v53, v113, vcc_lo
	s_delay_alu instid0(VALU_DEP_3) | instskip(NEXT) | instid1(VALU_DEP_4)
	v_add_co_u32 v110, vcc_lo, v52, v110
	v_add_co_ci_u32_e32 v111, vcc_lo, v53, v111, vcc_lo
	s_clause 0x1
	global_store_b64 v[112:113], v[92:93], off
	global_store_b64 v[110:111], v[96:97], off
	s_cbranch_execz .LBB0_15
	s_branch .LBB0_18
.LBB0_14:
                                        ; implicit-def: $vgpr52_vgpr53
.LBB0_15:
	s_mov_b32 s0, exec_lo
                                        ; implicit-def: $vgpr52_vgpr53
	v_cmpx_gt_u64_e64 s[10:11], v[32:33]
	s_cbranch_execz .LBB0_17
; %bb.16:
	v_mad_u64_u32 v[32:33], null, s4, v122, 0
	v_mad_u64_u32 v[52:53], null, s8, v123, 0
	s_lshl_b64 s[6:7], s[6:7], 3
	v_mad_u64_u32 v[116:117], null, s8, v129, 0
	s_add_u32 s1, s12, s6
	s_delay_alu instid0(VALU_DEP_3) | instskip(SKIP_2) | instid1(VALU_DEP_4)
	v_mad_u64_u32 v[110:111], null, s5, v122, v[33:34]
	v_mad_u64_u32 v[111:112], null, s8, v124, 0
	s_waitcnt vmcnt(5)
	v_mad_u64_u32 v[113:114], null, s9, v123, v[53:54]
	v_mad_u64_u32 v[114:115], null, s8, v125, 0
	s_delay_alu instid0(VALU_DEP_4) | instskip(SKIP_1) | instid1(VALU_DEP_4)
	v_mov_b32_e32 v33, v110
	s_addc_u32 s3, s13, s7
	v_mov_b32_e32 v110, v112
	s_and_b32 s2, s2, exec_lo
	s_delay_alu instid0(VALU_DEP_2) | instskip(NEXT) | instid1(VALU_DEP_2)
	v_lshlrev_b64 v[32:33], 3, v[32:33]
	v_mad_u64_u32 v[130:131], null, s9, v124, v[110:111]
	v_mov_b32_e32 v53, v113
	s_delay_alu instid0(VALU_DEP_2) | instskip(NEXT) | instid1(VALU_DEP_2)
	v_dual_mov_b32 v113, v115 :: v_dual_mov_b32 v112, v130
	v_lshlrev_b64 v[131:132], 3, v[52:53]
	v_add_co_u32 v52, vcc_lo, s1, v32
	v_mov_b32_e32 v32, v117
	v_add_co_ci_u32_e32 v53, vcc_lo, s3, v33, vcc_lo
	s_delay_alu instid0(VALU_DEP_3) | instskip(SKIP_1) | instid1(VALU_DEP_3)
	v_add_co_u32 v131, vcc_lo, v52, v131
	v_mad_u64_u32 v[133:134], null, s9, v125, v[113:114]
	v_add_co_ci_u32_e32 v132, vcc_lo, v53, v132, vcc_lo
	v_add_nc_u32_e32 v113, 48, v123
	s_and_not1_b32 s1, s16, exec_lo
	global_store_b64 v[131:132], v[108:109], off
	v_lshlrev_b64 v[108:109], 3, v[111:112]
	v_mad_u64_u32 v[110:111], null, s9, v129, v[32:33]
	v_mov_b32_e32 v115, v133
	v_mad_u64_u32 v[32:33], null, s8, v113, 0
	s_delay_alu instid0(VALU_DEP_4)
	v_add_co_u32 v108, vcc_lo, v52, v108
	v_add_co_ci_u32_e32 v109, vcc_lo, v53, v109, vcc_lo
	v_mov_b32_e32 v117, v110
	v_lshlrev_b64 v[110:111], 3, v[114:115]
	s_or_b32 s16, s1, s2
	global_store_b64 v[108:109], v[106:107], off
	v_mad_u64_u32 v[108:109], null, s9, v113, v[33:34]
	v_lshlrev_b64 v[106:107], 3, v[116:117]
	v_add_co_u32 v109, vcc_lo, v52, v110
	v_add_co_ci_u32_e32 v110, vcc_lo, v53, v111, vcc_lo
	v_mad_u64_u32 v[111:112], null, s8, v128, 0
	s_delay_alu instid0(VALU_DEP_4)
	v_add_co_u32 v106, vcc_lo, v52, v106
	v_add_co_ci_u32_e32 v107, vcc_lo, v53, v107, vcc_lo
	v_mov_b32_e32 v33, v108
	global_store_b64 v[109:110], v[104:105], off
	v_mov_b32_e32 v104, v112
	global_store_b64 v[106:107], v[102:103], off
	v_mad_u64_u32 v[102:103], null, s8, v127, 0
	v_lshlrev_b64 v[32:33], 3, v[32:33]
	v_add_nc_u32_e32 v113, 0x60, v123
	v_mad_u64_u32 v[105:106], null, s9, v128, v[104:105]
	v_mad_u64_u32 v[106:107], null, s8, v126, 0
	;; [unrolled: 1-line block ×3, first 2 shown]
	s_delay_alu instid0(VALU_DEP_4) | instskip(NEXT) | instid1(VALU_DEP_4)
	v_mad_u64_u32 v[109:110], null, s8, v113, 0
	v_mov_b32_e32 v112, v105
	v_add_co_u32 v32, vcc_lo, v52, v32
	v_add_co_ci_u32_e32 v33, vcc_lo, v53, v33, vcc_lo
	v_mov_b32_e32 v103, v108
	global_store_b64 v[32:33], v[100:101], off
	v_dual_mov_b32 v32, v107 :: v_dual_mov_b32 v33, v110
	v_lshlrev_b64 v[100:101], 3, v[111:112]
	v_lshlrev_b64 v[102:103], 3, v[102:103]
	s_delay_alu instid0(VALU_DEP_3) | instskip(NEXT) | instid1(VALU_DEP_3)
	v_mad_u64_u32 v[104:105], null, s9, v126, v[32:33]
	v_add_co_u32 v32, vcc_lo, v52, v100
	v_mad_u64_u32 v[110:111], null, s9, v113, v[33:34]
	v_add_co_ci_u32_e32 v33, vcc_lo, v53, v101, vcc_lo
	s_delay_alu instid0(VALU_DEP_4)
	v_mov_b32_e32 v107, v104
	v_add_co_u32 v100, vcc_lo, v52, v102
	v_add_co_ci_u32_e32 v101, vcc_lo, v53, v103, vcc_lo
	global_store_b64 v[32:33], v[98:99], off
	v_lshlrev_b64 v[32:33], 3, v[106:107]
	global_store_b64 v[100:101], v[94:95], off
	v_lshlrev_b64 v[94:95], 3, v[109:110]
	v_add_co_u32 v32, vcc_lo, v52, v32
	v_add_co_ci_u32_e32 v33, vcc_lo, v53, v33, vcc_lo
	s_delay_alu instid0(VALU_DEP_3) | instskip(NEXT) | instid1(VALU_DEP_4)
	v_add_co_u32 v94, vcc_lo, v52, v94
	v_add_co_ci_u32_e32 v95, vcc_lo, v53, v95, vcc_lo
	s_clause 0x1
	global_store_b64 v[32:33], v[92:93], off
	global_store_b64 v[94:95], v[96:97], off
.LBB0_17:
	s_or_b32 exec_lo, exec_lo, s0
.LBB0_18:
	s_and_saveexec_b32 s0, s16
	s_cbranch_execnz .LBB0_20
; %bb.19:
	s_nop 0
	s_sendmsg sendmsg(MSG_DEALLOC_VGPRS)
	s_endpgm
.LBB0_20:
	v_dual_mul_f32 v32, v39, v29 :: v_dual_mul_f32 v33, v37, v31
	v_dual_mul_f32 v31, v36, v31 :: v_dual_mul_f32 v92, v49, v25
	v_mul_f32_e32 v29, v38, v29
	s_delay_alu instid0(VALU_DEP_3) | instskip(NEXT) | instid1(VALU_DEP_4)
	v_dual_fmac_f32 v32, v38, v28 :: v_dual_mul_f32 v25, v48, v25
	v_fmac_f32_e32 v33, v36, v30
	s_delay_alu instid0(VALU_DEP_4) | instskip(NEXT) | instid1(VALU_DEP_4)
	v_fmac_f32_e32 v92, v48, v24
	v_fma_f32 v28, v39, v28, -v29
	v_fma_f32 v29, v37, v30, -v31
	v_mul_f32_e32 v30, v51, v13
	v_mul_f32_e32 v13, v50, v13
	v_fma_f32 v24, v49, v24, -v25
	v_mul_f32_e32 v25, v47, v27
	s_delay_alu instid0(VALU_DEP_4) | instskip(NEXT) | instid1(VALU_DEP_4)
	v_dual_mul_f32 v31, v43, v15 :: v_dual_fmac_f32 v30, v50, v12
	v_fma_f32 v12, v51, v12, -v13
	v_mul_f32_e32 v13, v45, v11
	v_mul_f32_e32 v11, v44, v11
	;; [unrolled: 1-line block ×3, first 2 shown]
	s_delay_alu instid0(VALU_DEP_3) | instskip(NEXT) | instid1(VALU_DEP_3)
	v_fmac_f32_e32 v13, v44, v10
	v_fma_f32 v10, v45, v10, -v11
	v_mul_f32_e32 v27, v46, v27
	s_delay_alu instid0(VALU_DEP_4) | instskip(SKIP_1) | instid1(VALU_DEP_4)
	v_fma_f32 v11, v43, v14, -v15
	v_fmac_f32_e32 v31, v42, v14
	v_sub_f32_e32 v14, v28, v10
	v_add_f32_e32 v10, v28, v10
	s_delay_alu instid0(VALU_DEP_4) | instskip(NEXT) | instid1(VALU_DEP_4)
	v_dual_sub_f32 v38, v24, v11 :: v_dual_fmac_f32 v25, v46, v26
	v_sub_f32_e32 v28, v92, v31
	v_fma_f32 v26, v47, v26, -v27
	v_mul_f32_e32 v27, v41, v9
	v_mul_f32_e32 v9, v40, v9
	v_dual_add_f32 v11, v24, v11 :: v_dual_fmamk_f32 v24, v10, 0x3f441b7d, v35
	s_delay_alu instid0(VALU_DEP_4) | instskip(NEXT) | instid1(VALU_DEP_4)
	v_sub_f32_e32 v39, v26, v12
	v_dual_fmac_f32 v27, v40, v8 :: v_dual_add_f32 v40, v25, v30
	s_delay_alu instid0(VALU_DEP_4) | instskip(SKIP_3) | instid1(VALU_DEP_4)
	v_fma_f32 v8, v41, v8, -v9
	v_sub_f32_e32 v9, v32, v13
	v_add_f32_e32 v13, v32, v13
	v_add_f32_e32 v41, v26, v12
	v_sub_f32_e32 v32, v29, v8
	v_dual_add_f32 v8, v29, v8 :: v_dual_add_f32 v29, v92, v31
	s_delay_alu instid0(VALU_DEP_1) | instskip(SKIP_1) | instid1(VALU_DEP_2)
	v_fmac_f32_e32 v24, 0x3e31d0d4, v8
	v_dual_mul_f32 v37, 0x3f248dbb, v14 :: v_dual_mul_f32 v36, 0x3f248dbb, v9
	v_dual_add_f32 v49, v8, v10 :: v_dual_fmac_f32 v24, -0.5, v11
	s_delay_alu instid0(VALU_DEP_1) | instskip(NEXT) | instid1(VALU_DEP_1)
	v_dual_sub_f32 v31, v25, v30 :: v_dual_fmac_f32 v24, 0xbf708fb2, v41
	v_mul_f32_e32 v44, 0xbf248dbb, v31
	v_mul_f32_e32 v42, 0xbf248dbb, v39
	v_sub_f32_e32 v15, v33, v27
	v_dual_fmac_f32 v37, 0x3f7c1c5c, v32 :: v_dual_add_f32 v46, v39, v14
	s_delay_alu instid0(VALU_DEP_4) | instskip(NEXT) | instid1(VALU_DEP_4)
	v_fmac_f32_e32 v44, 0x3f7c1c5c, v9
	v_fmac_f32_e32 v42, 0x3f7c1c5c, v14
	s_delay_alu instid0(VALU_DEP_4)
	v_fmac_f32_e32 v36, 0x3f7c1c5c, v15
	v_add_f32_e32 v27, v33, v27
	v_fmamk_f32 v33, v13, 0x3f441b7d, v34
	v_fmac_f32_e32 v44, 0xbf5db3d7, v28
	v_dual_fmamk_f32 v43, v40, 0x3f441b7d, v34 :: v_dual_add_f32 v50, v34, v29
	v_fmac_f32_e32 v36, 0x3f5db3d7, v28
	v_fmac_f32_e32 v42, 0xbf5db3d7, v38
	v_dual_fmac_f32 v33, 0x3e31d0d4, v27 :: v_dual_add_f32 v48, v31, v9
	s_delay_alu instid0(VALU_DEP_3) | instskip(SKIP_1) | instid1(VALU_DEP_3)
	v_dual_add_f32 v47, v27, v13 :: v_dual_fmac_f32 v36, 0x3eaf1d44, v31
	v_fmac_f32_e32 v37, 0x3f5db3d7, v38
	v_dual_fmac_f32 v42, 0x3eaf1d44, v32 :: v_dual_fmac_f32 v33, -0.5, v29
	v_add_f32_e32 v92, v35, v11
	v_fmac_f32_e32 v44, 0x3eaf1d44, v15
	v_add_f32_e32 v51, v40, v47
	v_fmac_f32_e32 v43, 0x3e31d0d4, v13
	v_add_f32_e32 v93, v41, v49
	v_add_f32_e32 v49, v11, v49
	v_fmac_f32_e32 v33, 0xbf708fb2, v40
	v_dual_add_f32 v24, v36, v24 :: v_dual_fmac_f32 v37, 0x3eaf1d44, v39
	v_sub_f32_e32 v46, v46, v32
	v_dual_fmac_f32 v50, -0.5, v51 :: v_dual_fmac_f32 v43, -0.5, v29
	v_dual_add_f32 v26, v26, v49 :: v_dual_mul_f32 v39, 0x3f7c1c5c, v39
	v_dual_fmamk_f32 v45, v41, 0x3f441b7d, v35 :: v_dual_sub_f32 v48, v48, v15
	s_delay_alu instid0(VALU_DEP_3) | instskip(NEXT) | instid1(VALU_DEP_3)
	v_fmac_f32_e32 v50, 0xbf5db3d7, v46
	v_dual_fmac_f32 v43, 0xbf708fb2, v27 :: v_dual_add_f32 v12, v12, v26
	s_delay_alu instid0(VALU_DEP_4) | instskip(SKIP_2) | instid1(VALU_DEP_4)
	v_fma_f32 v26, 0xbf248dbb, v32, -v39
	v_mul_f32_e32 v31, 0x3f7c1c5c, v31
	v_fma_f32 v36, -2.0, v36, v24
	v_sub_f32_e32 v43, v43, v42
	v_add_f32_e32 v12, v35, v12
	v_dual_fmac_f32 v26, 0x3f5db3d7, v38 :: v_dual_add_f32 v47, v29, v47
	v_fmac_f32_e32 v35, 0x3f441b7d, v8
	s_waitcnt vmcnt(8)
	v_mul_f32_e32 v39, v19, v21
	s_delay_alu instid0(VALU_DEP_3) | instskip(SKIP_4) | instid1(VALU_DEP_4)
	v_dual_mul_f32 v21, v18, v21 :: v_dual_fmac_f32 v26, 0x3eaf1d44, v14
	v_add_f32_e32 v25, v25, v47
	v_dual_fmac_f32 v45, 0x3e31d0d4, v10 :: v_dual_fmac_f32 v92, -0.5, v93
	v_sub_f32_e32 v33, v33, v37
	v_mul_f32_e32 v14, v83, v85
	v_add_f32_e32 v25, v30, v25
	s_delay_alu instid0(VALU_DEP_4) | instskip(SKIP_1) | instid1(VALU_DEP_4)
	v_dual_fmac_f32 v45, -0.5, v11 :: v_dual_fmac_f32 v92, 0x3f5db3d7, v48
	v_fma_f32 v15, 0xbf248dbb, v15, -v31
	v_fma_f32 v14, v82, v84, -v14
	s_delay_alu instid0(VALU_DEP_4)
	v_dual_add_f32 v25, v34, v25 :: v_dual_fmac_f32 v34, 0x3f441b7d, v27
	s_waitcnt vmcnt(0)
	v_mul_f32_e32 v27, v90, v89
	v_fmac_f32_e32 v15, 0x3f5db3d7, v28
	v_fma_f32 v37, 2.0, v37, v33
	v_fma_f32 v42, 2.0, v42, v43
	v_fmac_f32_e32 v34, 0x3e31d0d4, v40
	v_fmac_f32_e32 v27, v91, v88
	v_dual_mul_f32 v51, 0x3f5db3d7, v46 :: v_dual_mul_f32 v46, 0x3f5db3d7, v48
	v_dual_fmac_f32 v45, 0xbf708fb2, v8 :: v_dual_mul_f32 v8, v91, v89
	s_delay_alu instid0(VALU_DEP_4) | instskip(NEXT) | instid1(VALU_DEP_2)
	v_dual_fmac_f32 v34, -0.5, v29 :: v_dual_fmac_f32 v21, v19, v20
	v_dual_mul_f32 v38, v58, v63 :: v_dual_add_f32 v45, v44, v45
	s_delay_alu instid0(VALU_DEP_3) | instskip(NEXT) | instid1(VALU_DEP_3)
	v_fma_f32 v8, v90, v88, -v8
	v_fmac_f32_e32 v34, 0xbf708fb2, v13
	v_mul_f32_e32 v13, v78, v81
	v_fma_f32 v29, -2.0, v46, v92
	v_fma_f32 v44, -2.0, v44, v45
	v_fmac_f32_e32 v38, v59, v62
	v_sub_f32_e32 v28, v34, v26
	v_dual_mul_f32 v34, v14, v75 :: v_dual_fmac_f32 v35, 0x3e31d0d4, v41
	v_fmac_f32_e32 v13, v79, v80
	v_fmac_f32_e32 v15, 0x3eaf1d44, v9
	v_mul_f32_e32 v9, v8, v87
	v_fma_f32 v26, 2.0, v26, v28
	v_fmac_f32_e32 v35, -0.5, v11
	v_mul_f32_e32 v11, v79, v81
	s_delay_alu instid0(VALU_DEP_4) | instskip(NEXT) | instid1(VALU_DEP_2)
	v_fmac_f32_e32 v9, v86, v27
	v_fma_f32 v11, v78, v80, -v11
	s_delay_alu instid0(VALU_DEP_1) | instskip(NEXT) | instid1(VALU_DEP_1)
	v_mul_f32_e32 v32, v11, v77
	v_dual_fmac_f32 v32, v76, v13 :: v_dual_fmac_f32 v35, 0xbf708fb2, v10
	v_mul_f32_e32 v10, v27, v87
	v_fma_f32 v30, 2.0, v51, v50
	s_delay_alu instid0(VALU_DEP_2) | instskip(SKIP_2) | instid1(VALU_DEP_2)
	v_fma_f32 v10, v86, v8, -v10
	v_mul_f32_e32 v8, v12, v9
	v_mul_f32_e32 v9, v25, v9
	v_fmac_f32_e32 v8, v25, v10
	v_mul_f32_e32 v25, v13, v77
	s_delay_alu instid0(VALU_DEP_3) | instskip(SKIP_1) | instid1(VALU_DEP_3)
	v_fma_f32 v9, v12, v10, -v9
	v_mul_f32_e32 v10, v24, v32
	v_fma_f32 v11, v76, v11, -v25
	s_delay_alu instid0(VALU_DEP_1) | instskip(NEXT) | instid1(VALU_DEP_1)
	v_dual_mul_f32 v25, v70, v73 :: v_dual_fmac_f32 v10, v33, v11
	v_fmac_f32_e32 v25, v71, v72
	v_add_f32_e32 v27, v15, v35
	v_mul_f32_e32 v13, v33, v32
	v_mul_f32_e32 v33, v66, v69
	s_delay_alu instid0(VALU_DEP_3) | instskip(SKIP_1) | instid1(VALU_DEP_4)
	v_fma_f32 v31, -2.0, v15, v27
	v_mul_f32_e32 v15, v82, v85
	v_fma_f32 v11, v24, v11, -v13
	v_mul_f32_e32 v13, v67, v69
	v_fmac_f32_e32 v33, v67, v68
	s_delay_alu instid0(VALU_DEP_4) | instskip(NEXT) | instid1(VALU_DEP_3)
	v_fmac_f32_e32 v15, v83, v84
	v_fma_f32 v35, v66, v68, -v13
	s_delay_alu instid0(VALU_DEP_2) | instskip(SKIP_1) | instid1(VALU_DEP_2)
	v_mul_f32_e32 v12, v15, v75
	v_dual_fmac_f32 v34, v74, v15 :: v_dual_mul_f32 v15, v71, v73
	v_fma_f32 v14, v74, v14, -v12
	s_delay_alu instid0(VALU_DEP_2) | instskip(NEXT) | instid1(VALU_DEP_3)
	v_mul_f32_e32 v12, v45, v34
	v_fma_f32 v15, v70, v72, -v15
	v_mul_f32_e32 v32, v43, v34
	v_mul_f32_e32 v34, v25, v65
	s_delay_alu instid0(VALU_DEP_4) | instskip(NEXT) | instid1(VALU_DEP_4)
	v_fmac_f32_e32 v12, v43, v14
	v_mul_f32_e32 v24, v15, v65
	s_delay_alu instid0(VALU_DEP_4) | instskip(NEXT) | instid1(VALU_DEP_4)
	v_fma_f32 v13, v45, v14, -v32
	v_fma_f32 v15, v64, v15, -v34
	v_mul_f32_e32 v32, v59, v63
	v_mul_f32_e32 v34, v33, v61
	v_fmac_f32_e32 v24, v64, v25
	v_mul_f32_e32 v25, v35, v61
	s_delay_alu instid0(VALU_DEP_4) | instskip(NEXT) | instid1(VALU_DEP_4)
	v_fma_f32 v32, v58, v62, -v32
	v_fma_f32 v34, v60, v35, -v34
	s_delay_alu instid0(VALU_DEP_4) | instskip(NEXT) | instid1(VALU_DEP_4)
	v_mul_f32_e32 v14, v92, v24
	v_fmac_f32_e32 v25, v60, v33
	v_mul_f32_e32 v33, v50, v24
	s_delay_alu instid0(VALU_DEP_3) | instskip(NEXT) | instid1(VALU_DEP_3)
	v_dual_mul_f32 v35, v32, v57 :: v_dual_fmac_f32 v14, v50, v15
	v_mul_f32_e32 v24, v27, v25
	s_delay_alu instid0(VALU_DEP_3) | instskip(SKIP_4) | instid1(VALU_DEP_4)
	v_fma_f32 v15, v92, v15, -v33
	v_mul_f32_e32 v33, v38, v57
	v_mul_f32_e32 v25, v28, v25
	v_fmac_f32_e32 v35, v56, v38
	v_fmac_f32_e32 v24, v28, v34
	v_fma_f32 v28, v56, v32, -v33
	v_fma_f32 v32, v18, v20, -v39
	v_fma_f32 v25, v27, v34, -v25
	v_mul_f32_e32 v27, v23, v55
	v_mul_f32_e32 v20, v22, v55
	s_delay_alu instid0(VALU_DEP_4) | instskip(SKIP_1) | instid1(VALU_DEP_4)
	v_mul_f32_e32 v19, v32, v7
	v_mul_f32_e32 v7, v21, v7
	v_fma_f32 v22, v22, v54, -v27
	s_delay_alu instid0(VALU_DEP_4) | instskip(SKIP_4) | instid1(VALU_DEP_3)
	v_fmac_f32_e32 v20, v23, v54
	v_add_nc_u32_e32 v27, 21, v118
	v_fmac_f32_e32 v19, v6, v21
	v_fma_f32 v7, v6, v32, -v7
	v_mul_f32_e32 v23, v22, v17
	v_dual_mul_f32 v17, v20, v17 :: v_dual_mul_f32 v6, v29, v19
	s_delay_alu instid0(VALU_DEP_2) | instskip(NEXT) | instid1(VALU_DEP_2)
	v_fmac_f32_e32 v23, v16, v20
	v_fma_f32 v17, v16, v22, -v17
	v_mul_f32_e32 v22, v2, v5
	v_mul_f32_e32 v18, v31, v35
	;; [unrolled: 1-line block ×3, first 2 shown]
	v_dual_mul_f32 v5, v3, v5 :: v_dual_fmac_f32 v6, v30, v7
	s_delay_alu instid0(VALU_DEP_4) | instskip(NEXT) | instid1(VALU_DEP_4)
	v_fmac_f32_e32 v22, v3, v4
	v_fmac_f32_e32 v18, v26, v28
	v_mul_f32_e32 v26, v30, v19
	v_fma_f32 v19, v31, v28, -v21
	v_mad_u64_u32 v[20:21], null, s8, v120, 0
	v_mul_f32_e32 v28, v22, v1
	s_delay_alu instid0(VALU_DEP_4) | instskip(SKIP_4) | instid1(VALU_DEP_4)
	v_fma_f32 v7, v29, v7, -v26
	v_fma_f32 v26, v2, v4, -v5
	v_mad_u64_u32 v[2:3], null, s8, v27, 0
	v_mul_f32_e32 v16, v44, v23
	v_mul_f32_e32 v23, v42, v23
	;; [unrolled: 1-line block ×3, first 2 shown]
	v_dual_mov_b32 v1, v21 :: v_dual_add_nc_u32 v30, 33, v118
	s_delay_alu instid0(VALU_DEP_4) | instskip(NEXT) | instid1(VALU_DEP_4)
	v_fmac_f32_e32 v16, v42, v17
	v_fma_f32 v17, v44, v17, -v23
	s_delay_alu instid0(VALU_DEP_4) | instskip(NEXT) | instid1(VALU_DEP_4)
	v_fmac_f32_e32 v29, v0, v22
	v_mad_u64_u32 v[4:5], null, s9, v120, v[1:2]
	v_mad_u64_u32 v[22:23], null, s8, v30, 0
	v_fma_f32 v1, v0, v26, -v28
	v_mov_b32_e32 v0, v3
	v_mul_f32_e32 v28, v37, v29
	v_mul_f32_e32 v26, v36, v29
	v_mov_b32_e32 v21, v4
	s_delay_alu instid0(VALU_DEP_4) | instskip(SKIP_2) | instid1(VALU_DEP_4)
	v_mad_u64_u32 v[3:4], null, s9, v27, v[0:1]
	v_mov_b32_e32 v0, v23
	v_mad_u64_u32 v[4:5], null, s8, v121, 0
	v_lshlrev_b64 v[20:21], 3, v[20:21]
	v_fma_f32 v27, v36, v1, -v28
	s_delay_alu instid0(VALU_DEP_4)
	v_mad_u64_u32 v[28:29], null, s9, v30, v[0:1]
	v_fmac_f32_e32 v26, v37, v1
	v_lshlrev_b64 v[1:2], 3, v[2:3]
	v_mov_b32_e32 v0, v5
	v_add_co_u32 v20, vcc_lo, v52, v20
	v_add_co_ci_u32_e32 v21, vcc_lo, v53, v21, vcc_lo
	v_mov_b32_e32 v23, v28
	s_delay_alu instid0(VALU_DEP_4)
	v_mad_u64_u32 v[28:29], null, s9, v121, v[0:1]
	global_store_b64 v[20:21], v[8:9], off
	v_add_nc_u32_e32 v20, 57, v118
	v_lshlrev_b64 v[8:9], 3, v[22:23]
	v_add_co_u32 v0, vcc_lo, v52, v1
	v_add_co_ci_u32_e32 v1, vcc_lo, v53, v2, vcc_lo
	s_delay_alu instid0(VALU_DEP_4)
	v_mad_u64_u32 v[2:3], null, s8, v20, 0
	v_mov_b32_e32 v5, v28
	v_add_co_u32 v8, vcc_lo, v52, v8
	v_add_co_ci_u32_e32 v9, vcc_lo, v53, v9, vcc_lo
	v_add_nc_u32_e32 v21, 0x45, v118
	global_store_b64 v[0:1], v[10:11], off
	v_lshlrev_b64 v[0:1], 3, v[4:5]
	v_mad_u64_u32 v[4:5], null, s9, v20, v[3:4]
	global_store_b64 v[8:9], v[12:13], off
	v_mad_u64_u32 v[8:9], null, s8, v21, 0
	v_add_co_u32 v0, vcc_lo, v52, v0
	v_add_co_ci_u32_e32 v1, vcc_lo, v53, v1, vcc_lo
	v_dual_mov_b32 v3, v4 :: v_dual_add_nc_u32 v20, 0x69, v118
	s_delay_alu instid0(VALU_DEP_4)
	v_mov_b32_e32 v4, v9
	global_store_b64 v[0:1], v[14:15], off
	v_mad_u64_u32 v[0:1], null, s8, v119, 0
	v_lshlrev_b64 v[2:3], 3, v[2:3]
	v_mad_u64_u32 v[12:13], null, s9, v21, v[4:5]
	v_add_nc_u32_e32 v15, 0x5d, v118
	v_mad_u64_u32 v[13:14], null, s8, v20, 0
	s_delay_alu instid0(VALU_DEP_4) | instskip(SKIP_1) | instid1(VALU_DEP_4)
	v_mad_u64_u32 v[4:5], null, s9, v119, v[1:2]
	v_add_co_u32 v2, vcc_lo, v52, v2
	v_mad_u64_u32 v[10:11], null, s8, v15, 0
	v_add_co_ci_u32_e32 v3, vcc_lo, v53, v3, vcc_lo
	v_mov_b32_e32 v9, v12
	v_mov_b32_e32 v1, v4
	global_store_b64 v[2:3], v[24:25], off
	v_mov_b32_e32 v2, v14
	v_lshlrev_b64 v[3:4], 3, v[8:9]
	v_mov_b32_e32 v5, v11
	v_lshlrev_b64 v[0:1], 3, v[0:1]
	s_delay_alu instid0(VALU_DEP_3) | instskip(NEXT) | instid1(VALU_DEP_3)
	v_mad_u64_u32 v[8:9], null, s9, v20, v[2:3]
	v_mad_u64_u32 v[11:12], null, s9, v15, v[5:6]
	v_add_co_u32 v2, vcc_lo, v52, v3
	v_add_co_ci_u32_e32 v3, vcc_lo, v53, v4, vcc_lo
	s_delay_alu instid0(VALU_DEP_4) | instskip(SKIP_3) | instid1(VALU_DEP_4)
	v_mov_b32_e32 v14, v8
	v_add_co_u32 v0, vcc_lo, v52, v0
	v_lshlrev_b64 v[4:5], 3, v[10:11]
	v_add_co_ci_u32_e32 v1, vcc_lo, v53, v1, vcc_lo
	v_lshlrev_b64 v[8:9], 3, v[13:14]
	s_delay_alu instid0(VALU_DEP_3) | instskip(NEXT) | instid1(VALU_DEP_4)
	v_add_co_u32 v4, vcc_lo, v52, v4
	v_add_co_ci_u32_e32 v5, vcc_lo, v53, v5, vcc_lo
	s_delay_alu instid0(VALU_DEP_3) | instskip(NEXT) | instid1(VALU_DEP_4)
	v_add_co_u32 v8, vcc_lo, v52, v8
	v_add_co_ci_u32_e32 v9, vcc_lo, v53, v9, vcc_lo
	s_clause 0x3
	global_store_b64 v[2:3], v[18:19], off
	global_store_b64 v[0:1], v[6:7], off
	;; [unrolled: 1-line block ×4, first 2 shown]
	s_nop 0
	s_sendmsg sendmsg(MSG_DEALLOC_VGPRS)
	s_endpgm
	.section	.rodata,"a",@progbits
	.p2align	6, 0x0
	.amdhsa_kernel fft_rtc_back_len108_factors_6_2_9_wgs_252_tpt_9_dim2_sp_ip_CI_sbcc_twdbase8_3step_dirReg
		.amdhsa_group_segment_fixed_size 0
		.amdhsa_private_segment_fixed_size 0
		.amdhsa_kernarg_size 88
		.amdhsa_user_sgpr_count 15
		.amdhsa_user_sgpr_dispatch_ptr 0
		.amdhsa_user_sgpr_queue_ptr 0
		.amdhsa_user_sgpr_kernarg_segment_ptr 1
		.amdhsa_user_sgpr_dispatch_id 0
		.amdhsa_user_sgpr_private_segment_size 0
		.amdhsa_wavefront_size32 1
		.amdhsa_uses_dynamic_stack 0
		.amdhsa_enable_private_segment 0
		.amdhsa_system_sgpr_workgroup_id_x 1
		.amdhsa_system_sgpr_workgroup_id_y 0
		.amdhsa_system_sgpr_workgroup_id_z 0
		.amdhsa_system_sgpr_workgroup_info 0
		.amdhsa_system_vgpr_workitem_id 0
		.amdhsa_next_free_vgpr 191
		.amdhsa_next_free_sgpr 23
		.amdhsa_reserve_vcc 1
		.amdhsa_float_round_mode_32 0
		.amdhsa_float_round_mode_16_64 0
		.amdhsa_float_denorm_mode_32 3
		.amdhsa_float_denorm_mode_16_64 3
		.amdhsa_dx10_clamp 1
		.amdhsa_ieee_mode 1
		.amdhsa_fp16_overflow 0
		.amdhsa_workgroup_processor_mode 1
		.amdhsa_memory_ordered 1
		.amdhsa_forward_progress 0
		.amdhsa_shared_vgpr_count 0
		.amdhsa_exception_fp_ieee_invalid_op 0
		.amdhsa_exception_fp_denorm_src 0
		.amdhsa_exception_fp_ieee_div_zero 0
		.amdhsa_exception_fp_ieee_overflow 0
		.amdhsa_exception_fp_ieee_underflow 0
		.amdhsa_exception_fp_ieee_inexact 0
		.amdhsa_exception_int_div_zero 0
	.end_amdhsa_kernel
	.text
.Lfunc_end0:
	.size	fft_rtc_back_len108_factors_6_2_9_wgs_252_tpt_9_dim2_sp_ip_CI_sbcc_twdbase8_3step_dirReg, .Lfunc_end0-fft_rtc_back_len108_factors_6_2_9_wgs_252_tpt_9_dim2_sp_ip_CI_sbcc_twdbase8_3step_dirReg
                                        ; -- End function
	.section	.AMDGPU.csdata,"",@progbits
; Kernel info:
; codeLenInByte = 10748
; NumSgprs: 25
; NumVgprs: 191
; ScratchSize: 0
; MemoryBound: 0
; FloatMode: 240
; IeeeMode: 1
; LDSByteSize: 0 bytes/workgroup (compile time only)
; SGPRBlocks: 3
; VGPRBlocks: 23
; NumSGPRsForWavesPerEU: 25
; NumVGPRsForWavesPerEU: 191
; Occupancy: 8
; WaveLimiterHint : 1
; COMPUTE_PGM_RSRC2:SCRATCH_EN: 0
; COMPUTE_PGM_RSRC2:USER_SGPR: 15
; COMPUTE_PGM_RSRC2:TRAP_HANDLER: 0
; COMPUTE_PGM_RSRC2:TGID_X_EN: 1
; COMPUTE_PGM_RSRC2:TGID_Y_EN: 0
; COMPUTE_PGM_RSRC2:TGID_Z_EN: 0
; COMPUTE_PGM_RSRC2:TIDIG_COMP_CNT: 0
	.text
	.p2alignl 7, 3214868480
	.fill 96, 4, 3214868480
	.type	__hip_cuid_b46009c79b52bdd1,@object ; @__hip_cuid_b46009c79b52bdd1
	.section	.bss,"aw",@nobits
	.globl	__hip_cuid_b46009c79b52bdd1
__hip_cuid_b46009c79b52bdd1:
	.byte	0                               ; 0x0
	.size	__hip_cuid_b46009c79b52bdd1, 1

	.ident	"AMD clang version 19.0.0git (https://github.com/RadeonOpenCompute/llvm-project roc-6.4.0 25133 c7fe45cf4b819c5991fe208aaa96edf142730f1d)"
	.section	".note.GNU-stack","",@progbits
	.addrsig
	.addrsig_sym __hip_cuid_b46009c79b52bdd1
	.amdgpu_metadata
---
amdhsa.kernels:
  - .args:
      - .actual_access:  read_only
        .address_space:  global
        .offset:         0
        .size:           8
        .value_kind:     global_buffer
      - .address_space:  global
        .offset:         8
        .size:           8
        .value_kind:     global_buffer
      - .actual_access:  read_only
        .address_space:  global
        .offset:         16
        .size:           8
        .value_kind:     global_buffer
      - .actual_access:  read_only
        .address_space:  global
        .offset:         24
        .size:           8
        .value_kind:     global_buffer
      - .offset:         32
        .size:           8
        .value_kind:     by_value
      - .actual_access:  read_only
        .address_space:  global
        .offset:         40
        .size:           8
        .value_kind:     global_buffer
      - .actual_access:  read_only
        .address_space:  global
        .offset:         48
        .size:           8
        .value_kind:     global_buffer
      - .offset:         56
        .size:           4
        .value_kind:     by_value
      - .actual_access:  read_only
        .address_space:  global
        .offset:         64
        .size:           8
        .value_kind:     global_buffer
      - .actual_access:  read_only
        .address_space:  global
        .offset:         72
        .size:           8
        .value_kind:     global_buffer
      - .address_space:  global
        .offset:         80
        .size:           8
        .value_kind:     global_buffer
    .group_segment_fixed_size: 0
    .kernarg_segment_align: 8
    .kernarg_segment_size: 88
    .language:       OpenCL C
    .language_version:
      - 2
      - 0
    .max_flat_workgroup_size: 252
    .name:           fft_rtc_back_len108_factors_6_2_9_wgs_252_tpt_9_dim2_sp_ip_CI_sbcc_twdbase8_3step_dirReg
    .private_segment_fixed_size: 0
    .sgpr_count:     25
    .sgpr_spill_count: 0
    .symbol:         fft_rtc_back_len108_factors_6_2_9_wgs_252_tpt_9_dim2_sp_ip_CI_sbcc_twdbase8_3step_dirReg.kd
    .uniform_work_group_size: 1
    .uses_dynamic_stack: false
    .vgpr_count:     191
    .vgpr_spill_count: 0
    .wavefront_size: 32
    .workgroup_processor_mode: 1
amdhsa.target:   amdgcn-amd-amdhsa--gfx1100
amdhsa.version:
  - 1
  - 2
...

	.end_amdgpu_metadata
